;; amdgpu-corpus repo=ROCm/rocFFT kind=compiled arch=gfx1201 opt=O3
	.text
	.amdgcn_target "amdgcn-amd-amdhsa--gfx1201"
	.amdhsa_code_object_version 6
	.protected	fft_rtc_fwd_len1650_factors_11_2_3_5_5_wgs_110_tpt_110_halfLds_dp_ip_CI_unitstride_sbrr_C2R_dirReg ; -- Begin function fft_rtc_fwd_len1650_factors_11_2_3_5_5_wgs_110_tpt_110_halfLds_dp_ip_CI_unitstride_sbrr_C2R_dirReg
	.globl	fft_rtc_fwd_len1650_factors_11_2_3_5_5_wgs_110_tpt_110_halfLds_dp_ip_CI_unitstride_sbrr_C2R_dirReg
	.p2align	8
	.type	fft_rtc_fwd_len1650_factors_11_2_3_5_5_wgs_110_tpt_110_halfLds_dp_ip_CI_unitstride_sbrr_C2R_dirReg,@function
fft_rtc_fwd_len1650_factors_11_2_3_5_5_wgs_110_tpt_110_halfLds_dp_ip_CI_unitstride_sbrr_C2R_dirReg: ; @fft_rtc_fwd_len1650_factors_11_2_3_5_5_wgs_110_tpt_110_halfLds_dp_ip_CI_unitstride_sbrr_C2R_dirReg
; %bb.0:
	s_clause 0x2
	s_load_b128 s[4:7], s[0:1], 0x0
	s_load_b64 s[8:9], s[0:1], 0x50
	s_load_b64 s[10:11], s[0:1], 0x18
	v_mul_u32_u24_e32 v1, 0x254, v0
	v_mov_b32_e32 v3, 0
	s_delay_alu instid0(VALU_DEP_2) | instskip(NEXT) | instid1(VALU_DEP_1)
	v_lshrrev_b32_e32 v1, 16, v1
	v_add_nc_u32_e32 v5, ttmp9, v1
	v_mov_b32_e32 v1, 0
	v_mov_b32_e32 v2, 0
	;; [unrolled: 1-line block ×3, first 2 shown]
	s_wait_kmcnt 0x0
	v_cmp_lt_u64_e64 s2, s[6:7], 2
	s_delay_alu instid0(VALU_DEP_1)
	s_and_b32 vcc_lo, exec_lo, s2
	s_cbranch_vccnz .LBB0_8
; %bb.1:
	s_load_b64 s[2:3], s[0:1], 0x10
	v_mov_b32_e32 v1, 0
	v_mov_b32_e32 v2, 0
	s_add_nc_u64 s[12:13], s[10:11], 8
	s_mov_b64 s[14:15], 1
	s_wait_kmcnt 0x0
	s_add_nc_u64 s[16:17], s[2:3], 8
	s_mov_b32 s3, 0
.LBB0_2:                                ; =>This Inner Loop Header: Depth=1
	s_load_b64 s[18:19], s[16:17], 0x0
                                        ; implicit-def: $vgpr7_vgpr8
	s_mov_b32 s2, exec_lo
	s_wait_kmcnt 0x0
	v_or_b32_e32 v4, s19, v6
	s_delay_alu instid0(VALU_DEP_1)
	v_cmpx_ne_u64_e32 0, v[3:4]
	s_wait_alu 0xfffe
	s_xor_b32 s20, exec_lo, s2
	s_cbranch_execz .LBB0_4
; %bb.3:                                ;   in Loop: Header=BB0_2 Depth=1
	s_cvt_f32_u32 s2, s18
	s_cvt_f32_u32 s21, s19
	s_sub_nc_u64 s[24:25], 0, s[18:19]
	s_wait_alu 0xfffe
	s_delay_alu instid0(SALU_CYCLE_1) | instskip(SKIP_1) | instid1(SALU_CYCLE_2)
	s_fmamk_f32 s2, s21, 0x4f800000, s2
	s_wait_alu 0xfffe
	v_s_rcp_f32 s2, s2
	s_delay_alu instid0(TRANS32_DEP_1) | instskip(SKIP_1) | instid1(SALU_CYCLE_2)
	s_mul_f32 s2, s2, 0x5f7ffffc
	s_wait_alu 0xfffe
	s_mul_f32 s21, s2, 0x2f800000
	s_wait_alu 0xfffe
	s_delay_alu instid0(SALU_CYCLE_2) | instskip(SKIP_1) | instid1(SALU_CYCLE_2)
	s_trunc_f32 s21, s21
	s_wait_alu 0xfffe
	s_fmamk_f32 s2, s21, 0xcf800000, s2
	s_cvt_u32_f32 s23, s21
	s_wait_alu 0xfffe
	s_delay_alu instid0(SALU_CYCLE_1) | instskip(SKIP_1) | instid1(SALU_CYCLE_2)
	s_cvt_u32_f32 s22, s2
	s_wait_alu 0xfffe
	s_mul_u64 s[26:27], s[24:25], s[22:23]
	s_wait_alu 0xfffe
	s_mul_hi_u32 s29, s22, s27
	s_mul_i32 s28, s22, s27
	s_mul_hi_u32 s2, s22, s26
	s_mul_i32 s30, s23, s26
	s_wait_alu 0xfffe
	s_add_nc_u64 s[28:29], s[2:3], s[28:29]
	s_mul_hi_u32 s21, s23, s26
	s_mul_hi_u32 s31, s23, s27
	s_add_co_u32 s2, s28, s30
	s_wait_alu 0xfffe
	s_add_co_ci_u32 s2, s29, s21
	s_mul_i32 s26, s23, s27
	s_add_co_ci_u32 s27, s31, 0
	s_wait_alu 0xfffe
	s_add_nc_u64 s[26:27], s[2:3], s[26:27]
	s_wait_alu 0xfffe
	v_add_co_u32 v4, s2, s22, s26
	s_delay_alu instid0(VALU_DEP_1) | instskip(SKIP_1) | instid1(VALU_DEP_1)
	s_cmp_lg_u32 s2, 0
	s_add_co_ci_u32 s23, s23, s27
	v_readfirstlane_b32 s22, v4
	s_wait_alu 0xfffe
	s_delay_alu instid0(VALU_DEP_1)
	s_mul_u64 s[24:25], s[24:25], s[22:23]
	s_wait_alu 0xfffe
	s_mul_hi_u32 s27, s22, s25
	s_mul_i32 s26, s22, s25
	s_mul_hi_u32 s2, s22, s24
	s_mul_i32 s28, s23, s24
	s_wait_alu 0xfffe
	s_add_nc_u64 s[26:27], s[2:3], s[26:27]
	s_mul_hi_u32 s21, s23, s24
	s_mul_hi_u32 s22, s23, s25
	s_wait_alu 0xfffe
	s_add_co_u32 s2, s26, s28
	s_add_co_ci_u32 s2, s27, s21
	s_mul_i32 s24, s23, s25
	s_add_co_ci_u32 s25, s22, 0
	s_wait_alu 0xfffe
	s_add_nc_u64 s[24:25], s[2:3], s[24:25]
	s_wait_alu 0xfffe
	v_add_co_u32 v4, s2, v4, s24
	s_delay_alu instid0(VALU_DEP_1) | instskip(SKIP_1) | instid1(VALU_DEP_1)
	s_cmp_lg_u32 s2, 0
	s_add_co_ci_u32 s2, s23, s25
	v_mul_hi_u32 v13, v5, v4
	s_wait_alu 0xfffe
	v_mad_co_u64_u32 v[7:8], null, v5, s2, 0
	v_mad_co_u64_u32 v[9:10], null, v6, v4, 0
	;; [unrolled: 1-line block ×3, first 2 shown]
	s_delay_alu instid0(VALU_DEP_3) | instskip(SKIP_1) | instid1(VALU_DEP_4)
	v_add_co_u32 v4, vcc_lo, v13, v7
	s_wait_alu 0xfffd
	v_add_co_ci_u32_e32 v7, vcc_lo, 0, v8, vcc_lo
	s_delay_alu instid0(VALU_DEP_2) | instskip(SKIP_1) | instid1(VALU_DEP_2)
	v_add_co_u32 v4, vcc_lo, v4, v9
	s_wait_alu 0xfffd
	v_add_co_ci_u32_e32 v4, vcc_lo, v7, v10, vcc_lo
	s_wait_alu 0xfffd
	v_add_co_ci_u32_e32 v7, vcc_lo, 0, v12, vcc_lo
	s_delay_alu instid0(VALU_DEP_2) | instskip(SKIP_1) | instid1(VALU_DEP_2)
	v_add_co_u32 v4, vcc_lo, v4, v11
	s_wait_alu 0xfffd
	v_add_co_ci_u32_e32 v9, vcc_lo, 0, v7, vcc_lo
	s_delay_alu instid0(VALU_DEP_2) | instskip(SKIP_1) | instid1(VALU_DEP_3)
	v_mul_lo_u32 v10, s19, v4
	v_mad_co_u64_u32 v[7:8], null, s18, v4, 0
	v_mul_lo_u32 v11, s18, v9
	s_delay_alu instid0(VALU_DEP_2) | instskip(NEXT) | instid1(VALU_DEP_2)
	v_sub_co_u32 v7, vcc_lo, v5, v7
	v_add3_u32 v8, v8, v11, v10
	s_delay_alu instid0(VALU_DEP_1) | instskip(SKIP_1) | instid1(VALU_DEP_1)
	v_sub_nc_u32_e32 v10, v6, v8
	s_wait_alu 0xfffd
	v_subrev_co_ci_u32_e64 v10, s2, s19, v10, vcc_lo
	v_add_co_u32 v11, s2, v4, 2
	s_wait_alu 0xf1ff
	v_add_co_ci_u32_e64 v12, s2, 0, v9, s2
	v_sub_co_u32 v13, s2, v7, s18
	v_sub_co_ci_u32_e32 v8, vcc_lo, v6, v8, vcc_lo
	s_wait_alu 0xf1ff
	v_subrev_co_ci_u32_e64 v10, s2, 0, v10, s2
	s_delay_alu instid0(VALU_DEP_3) | instskip(NEXT) | instid1(VALU_DEP_3)
	v_cmp_le_u32_e32 vcc_lo, s18, v13
	v_cmp_eq_u32_e64 s2, s19, v8
	s_wait_alu 0xfffd
	v_cndmask_b32_e64 v13, 0, -1, vcc_lo
	v_cmp_le_u32_e32 vcc_lo, s19, v10
	s_wait_alu 0xfffd
	v_cndmask_b32_e64 v14, 0, -1, vcc_lo
	v_cmp_le_u32_e32 vcc_lo, s18, v7
	;; [unrolled: 3-line block ×3, first 2 shown]
	s_wait_alu 0xfffd
	v_cndmask_b32_e64 v15, 0, -1, vcc_lo
	v_cmp_eq_u32_e32 vcc_lo, s19, v10
	s_wait_alu 0xf1ff
	s_delay_alu instid0(VALU_DEP_2)
	v_cndmask_b32_e64 v7, v15, v7, s2
	s_wait_alu 0xfffd
	v_cndmask_b32_e32 v10, v14, v13, vcc_lo
	v_add_co_u32 v13, vcc_lo, v4, 1
	s_wait_alu 0xfffd
	v_add_co_ci_u32_e32 v14, vcc_lo, 0, v9, vcc_lo
	s_delay_alu instid0(VALU_DEP_3) | instskip(SKIP_2) | instid1(VALU_DEP_3)
	v_cmp_ne_u32_e32 vcc_lo, 0, v10
	s_wait_alu 0xfffd
	v_cndmask_b32_e32 v10, v13, v11, vcc_lo
	v_cndmask_b32_e32 v8, v14, v12, vcc_lo
	v_cmp_ne_u32_e32 vcc_lo, 0, v7
	s_wait_alu 0xfffd
	s_delay_alu instid0(VALU_DEP_2)
	v_dual_cndmask_b32 v7, v4, v10 :: v_dual_cndmask_b32 v8, v9, v8
.LBB0_4:                                ;   in Loop: Header=BB0_2 Depth=1
	s_wait_alu 0xfffe
	s_and_not1_saveexec_b32 s2, s20
	s_cbranch_execz .LBB0_6
; %bb.5:                                ;   in Loop: Header=BB0_2 Depth=1
	v_cvt_f32_u32_e32 v4, s18
	s_sub_co_i32 s20, 0, s18
	s_delay_alu instid0(VALU_DEP_1) | instskip(NEXT) | instid1(TRANS32_DEP_1)
	v_rcp_iflag_f32_e32 v4, v4
	v_mul_f32_e32 v4, 0x4f7ffffe, v4
	s_delay_alu instid0(VALU_DEP_1) | instskip(SKIP_1) | instid1(VALU_DEP_1)
	v_cvt_u32_f32_e32 v4, v4
	s_wait_alu 0xfffe
	v_mul_lo_u32 v7, s20, v4
	s_delay_alu instid0(VALU_DEP_1) | instskip(NEXT) | instid1(VALU_DEP_1)
	v_mul_hi_u32 v7, v4, v7
	v_add_nc_u32_e32 v4, v4, v7
	s_delay_alu instid0(VALU_DEP_1) | instskip(NEXT) | instid1(VALU_DEP_1)
	v_mul_hi_u32 v4, v5, v4
	v_mul_lo_u32 v7, v4, s18
	v_add_nc_u32_e32 v8, 1, v4
	s_delay_alu instid0(VALU_DEP_2) | instskip(NEXT) | instid1(VALU_DEP_1)
	v_sub_nc_u32_e32 v7, v5, v7
	v_subrev_nc_u32_e32 v9, s18, v7
	v_cmp_le_u32_e32 vcc_lo, s18, v7
	s_wait_alu 0xfffd
	s_delay_alu instid0(VALU_DEP_2) | instskip(NEXT) | instid1(VALU_DEP_1)
	v_dual_cndmask_b32 v7, v7, v9 :: v_dual_cndmask_b32 v4, v4, v8
	v_cmp_le_u32_e32 vcc_lo, s18, v7
	s_delay_alu instid0(VALU_DEP_2) | instskip(SKIP_1) | instid1(VALU_DEP_1)
	v_add_nc_u32_e32 v8, 1, v4
	s_wait_alu 0xfffd
	v_dual_cndmask_b32 v7, v4, v8 :: v_dual_mov_b32 v8, v3
.LBB0_6:                                ;   in Loop: Header=BB0_2 Depth=1
	s_wait_alu 0xfffe
	s_or_b32 exec_lo, exec_lo, s2
	s_load_b64 s[20:21], s[12:13], 0x0
	s_delay_alu instid0(VALU_DEP_1)
	v_mul_lo_u32 v4, v8, s18
	v_mul_lo_u32 v11, v7, s19
	v_mad_co_u64_u32 v[9:10], null, v7, s18, 0
	s_add_nc_u64 s[14:15], s[14:15], 1
	s_add_nc_u64 s[12:13], s[12:13], 8
	s_wait_alu 0xfffe
	v_cmp_ge_u64_e64 s2, s[14:15], s[6:7]
	s_add_nc_u64 s[16:17], s[16:17], 8
	s_delay_alu instid0(VALU_DEP_2) | instskip(NEXT) | instid1(VALU_DEP_3)
	v_add3_u32 v4, v10, v11, v4
	v_sub_co_u32 v5, vcc_lo, v5, v9
	s_wait_alu 0xfffd
	s_delay_alu instid0(VALU_DEP_2) | instskip(SKIP_3) | instid1(VALU_DEP_2)
	v_sub_co_ci_u32_e32 v4, vcc_lo, v6, v4, vcc_lo
	s_and_b32 vcc_lo, exec_lo, s2
	s_wait_kmcnt 0x0
	v_mul_lo_u32 v6, s21, v5
	v_mul_lo_u32 v4, s20, v4
	v_mad_co_u64_u32 v[1:2], null, s20, v5, v[1:2]
	s_delay_alu instid0(VALU_DEP_1)
	v_add3_u32 v2, v6, v2, v4
	s_wait_alu 0xfffe
	s_cbranch_vccnz .LBB0_9
; %bb.7:                                ;   in Loop: Header=BB0_2 Depth=1
	v_dual_mov_b32 v5, v7 :: v_dual_mov_b32 v6, v8
	s_branch .LBB0_2
.LBB0_8:
	v_dual_mov_b32 v8, v6 :: v_dual_mov_b32 v7, v5
.LBB0_9:
	s_lshl_b64 s[2:3], s[6:7], 3
	v_mul_hi_u32 v5, 0x253c826, v0
	s_wait_alu 0xfffe
	s_add_nc_u64 s[2:3], s[10:11], s[2:3]
	s_load_b64 s[2:3], s[2:3], 0x0
	s_load_b64 s[0:1], s[0:1], 0x20
	s_wait_kmcnt 0x0
	v_mul_lo_u32 v3, s2, v8
	v_mul_lo_u32 v4, s3, v7
	v_mad_co_u64_u32 v[1:2], null, s2, v7, v[1:2]
	v_cmp_gt_u64_e32 vcc_lo, s[0:1], v[7:8]
	s_delay_alu instid0(VALU_DEP_2) | instskip(SKIP_1) | instid1(VALU_DEP_2)
	v_add3_u32 v2, v4, v2, v3
	v_mul_u32_u24_e32 v3, 0x6e, v5
	v_lshlrev_b64_e32 v[66:67], 4, v[1:2]
	s_delay_alu instid0(VALU_DEP_2)
	v_sub_nc_u32_e32 v64, v0, v3
	s_and_saveexec_b32 s1, vcc_lo
	s_cbranch_execz .LBB0_13
; %bb.10:
	v_mov_b32_e32 v65, 0
	s_delay_alu instid0(VALU_DEP_3) | instskip(SKIP_2) | instid1(VALU_DEP_3)
	v_add_co_u32 v0, s0, s8, v66
	s_wait_alu 0xf1ff
	v_add_co_ci_u32_e64 v1, s0, s9, v67, s0
	v_lshlrev_b64_e32 v[2:3], 4, v[64:65]
	v_lshl_add_u32 v62, v64, 4, 0
	s_mov_b32 s2, exec_lo
	s_delay_alu instid0(VALU_DEP_2) | instskip(SKIP_1) | instid1(VALU_DEP_3)
	v_add_co_u32 v58, s0, v0, v2
	s_wait_alu 0xf1ff
	v_add_co_ci_u32_e64 v59, s0, v1, v3, s0
	s_clause 0xe
	global_load_b128 v[2:5], v[58:59], off
	global_load_b128 v[6:9], v[58:59], off offset:1760
	global_load_b128 v[10:13], v[58:59], off offset:3520
	;; [unrolled: 1-line block ×14, first 2 shown]
	s_wait_loadcnt 0xe
	ds_store_b128 v62, v[2:5]
	s_wait_loadcnt 0xd
	ds_store_b128 v62, v[6:9] offset:1760
	s_wait_loadcnt 0xc
	ds_store_b128 v62, v[10:13] offset:3520
	;; [unrolled: 2-line block ×14, first 2 shown]
	v_cmpx_eq_u32_e32 0x6d, v64
	s_cbranch_execz .LBB0_12
; %bb.11:
	global_load_b128 v[0:3], v[0:1], off offset:26400
	v_mov_b32_e32 v64, 0x6d
	s_wait_loadcnt 0x0
	ds_store_b128 v65, v[0:3] offset:26400
.LBB0_12:
	s_wait_alu 0xfffe
	s_or_b32 exec_lo, exec_lo, s2
.LBB0_13:
	s_wait_alu 0xfffe
	s_or_b32 exec_lo, exec_lo, s1
	v_lshlrev_b32_e32 v0, 4, v64
	global_wb scope:SCOPE_SE
	s_wait_dscnt 0x0
	s_barrier_signal -1
	s_barrier_wait -1
	global_inv scope:SCOPE_SE
	v_add_nc_u32_e32 v140, 0, v0
	v_sub_nc_u32_e32 v10, 0, v0
	s_mov_b32 s1, exec_lo
                                        ; implicit-def: $vgpr4_vgpr5
	ds_load_b64 v[6:7], v140
	ds_load_b64 v[8:9], v10 offset:26400
	s_wait_dscnt 0x0
	v_add_f64_e32 v[0:1], v[6:7], v[8:9]
	v_add_f64_e64 v[2:3], v[6:7], -v[8:9]
	v_cmpx_ne_u32_e32 0, v64
	s_wait_alu 0xfffe
	s_xor_b32 s1, exec_lo, s1
	s_cbranch_execz .LBB0_15
; %bb.14:
	v_mov_b32_e32 v65, 0
	v_add_f64_e32 v[13:14], v[6:7], v[8:9]
	v_add_f64_e64 v[15:16], v[6:7], -v[8:9]
	s_delay_alu instid0(VALU_DEP_3) | instskip(NEXT) | instid1(VALU_DEP_1)
	v_lshlrev_b64_e32 v[0:1], 4, v[64:65]
	v_add_co_u32 v0, s0, s4, v0
	s_wait_alu 0xf1ff
	s_delay_alu instid0(VALU_DEP_2)
	v_add_co_ci_u32_e64 v1, s0, s5, v1, s0
	global_load_b128 v[2:5], v[0:1], off offset:26224
	ds_load_b64 v[0:1], v10 offset:26408
	ds_load_b64 v[11:12], v140 offset:8
	s_wait_dscnt 0x0
	v_add_f64_e32 v[6:7], v[0:1], v[11:12]
	v_add_f64_e64 v[0:1], v[11:12], -v[0:1]
	s_wait_loadcnt 0x0
	v_fma_f64 v[8:9], v[15:16], v[4:5], v[13:14]
	v_fma_f64 v[11:12], -v[15:16], v[4:5], v[13:14]
	s_delay_alu instid0(VALU_DEP_3) | instskip(SKIP_1) | instid1(VALU_DEP_4)
	v_fma_f64 v[13:14], v[6:7], v[4:5], -v[0:1]
	v_fma_f64 v[4:5], v[6:7], v[4:5], v[0:1]
	v_fma_f64 v[0:1], -v[6:7], v[2:3], v[8:9]
	s_delay_alu instid0(VALU_DEP_4) | instskip(NEXT) | instid1(VALU_DEP_4)
	v_fma_f64 v[6:7], v[6:7], v[2:3], v[11:12]
	v_fma_f64 v[8:9], v[15:16], v[2:3], v[13:14]
	s_delay_alu instid0(VALU_DEP_4)
	v_fma_f64 v[2:3], v[15:16], v[2:3], v[4:5]
	v_dual_mov_b32 v4, v64 :: v_dual_mov_b32 v5, v65
	ds_store_b128 v10, v[6:9] offset:26400
.LBB0_15:
	s_wait_alu 0xfffe
	s_and_not1_saveexec_b32 s0, s1
	s_cbranch_execz .LBB0_17
; %bb.16:
	v_mov_b32_e32 v8, 0
	ds_load_b128 v[4:7], v8 offset:13200
	s_wait_dscnt 0x0
	v_add_f64_e32 v[11:12], v[4:5], v[4:5]
	v_mul_f64_e32 v[13:14], -2.0, v[6:7]
	v_mov_b32_e32 v4, 0
	v_mov_b32_e32 v5, 0
	ds_store_b128 v8, v[11:14] offset:13200
.LBB0_17:
	s_wait_alu 0xfffe
	s_or_b32 exec_lo, exec_lo, s0
	v_lshlrev_b64_e32 v[4:5], 4, v[4:5]
	s_add_nc_u64 s[0:1], s[4:5], 0x6670
	s_wait_alu 0xfffe
	s_delay_alu instid0(VALU_DEP_1) | instskip(SKIP_1) | instid1(VALU_DEP_2)
	v_add_co_u32 v4, s0, s0, v4
	s_wait_alu 0xf1ff
	v_add_co_ci_u32_e64 v5, s0, s1, v5, s0
	v_cmp_gt_u32_e64 s0, 55, v64
	s_clause 0x1
	global_load_b128 v[6:9], v[4:5], off offset:1760
	global_load_b128 v[11:14], v[4:5], off offset:3520
	ds_store_b128 v140, v[0:3]
	ds_load_b128 v[0:3], v140 offset:1760
	ds_load_b128 v[15:18], v10 offset:24640
	global_load_b128 v[19:22], v[4:5], off offset:5280
	s_wait_dscnt 0x0
	v_add_f64_e32 v[23:24], v[0:1], v[15:16]
	v_add_f64_e32 v[25:26], v[17:18], v[2:3]
	v_add_f64_e64 v[27:28], v[0:1], -v[15:16]
	v_add_f64_e64 v[0:1], v[2:3], -v[17:18]
	s_wait_loadcnt 0x2
	s_delay_alu instid0(VALU_DEP_2) | instskip(NEXT) | instid1(VALU_DEP_2)
	v_fma_f64 v[2:3], v[27:28], v[8:9], v[23:24]
	v_fma_f64 v[15:16], v[25:26], v[8:9], v[0:1]
	v_fma_f64 v[17:18], -v[27:28], v[8:9], v[23:24]
	v_fma_f64 v[8:9], v[25:26], v[8:9], -v[0:1]
	s_delay_alu instid0(VALU_DEP_4) | instskip(NEXT) | instid1(VALU_DEP_4)
	v_fma_f64 v[0:1], -v[25:26], v[6:7], v[2:3]
	v_fma_f64 v[2:3], v[27:28], v[6:7], v[15:16]
	s_delay_alu instid0(VALU_DEP_4) | instskip(NEXT) | instid1(VALU_DEP_4)
	v_fma_f64 v[15:16], v[25:26], v[6:7], v[17:18]
	v_fma_f64 v[17:18], v[27:28], v[6:7], v[8:9]
	ds_store_b128 v140, v[0:3] offset:1760
	ds_store_b128 v10, v[15:18] offset:24640
	ds_load_b128 v[0:3], v140 offset:3520
	ds_load_b128 v[6:9], v10 offset:22880
	global_load_b128 v[15:18], v[4:5], off offset:7040
	s_wait_dscnt 0x0
	v_add_f64_e32 v[23:24], v[0:1], v[6:7]
	v_add_f64_e32 v[25:26], v[8:9], v[2:3]
	v_add_f64_e64 v[27:28], v[0:1], -v[6:7]
	v_add_f64_e64 v[0:1], v[2:3], -v[8:9]
	s_wait_loadcnt 0x2
	s_delay_alu instid0(VALU_DEP_2) | instskip(NEXT) | instid1(VALU_DEP_2)
	v_fma_f64 v[2:3], v[27:28], v[13:14], v[23:24]
	v_fma_f64 v[6:7], v[25:26], v[13:14], v[0:1]
	v_fma_f64 v[8:9], -v[27:28], v[13:14], v[23:24]
	v_fma_f64 v[13:14], v[25:26], v[13:14], -v[0:1]
	s_delay_alu instid0(VALU_DEP_4) | instskip(NEXT) | instid1(VALU_DEP_4)
	v_fma_f64 v[0:1], -v[25:26], v[11:12], v[2:3]
	v_fma_f64 v[2:3], v[27:28], v[11:12], v[6:7]
	s_delay_alu instid0(VALU_DEP_4) | instskip(NEXT) | instid1(VALU_DEP_4)
	v_fma_f64 v[6:7], v[25:26], v[11:12], v[8:9]
	v_fma_f64 v[8:9], v[27:28], v[11:12], v[13:14]
	ds_store_b128 v140, v[0:3] offset:3520
	ds_store_b128 v10, v[6:9] offset:22880
	;; [unrolled: 22-line block ×4, first 2 shown]
	ds_load_b128 v[0:3], v140 offset:8800
	ds_load_b128 v[6:9], v10 offset:17600
	s_wait_dscnt 0x0
	v_add_f64_e32 v[15:16], v[0:1], v[6:7]
	v_add_f64_e32 v[17:18], v[8:9], v[2:3]
	v_add_f64_e64 v[23:24], v[0:1], -v[6:7]
	v_add_f64_e64 v[0:1], v[2:3], -v[8:9]
	s_wait_loadcnt 0x1
	s_delay_alu instid0(VALU_DEP_2) | instskip(NEXT) | instid1(VALU_DEP_2)
	v_fma_f64 v[2:3], v[23:24], v[13:14], v[15:16]
	v_fma_f64 v[6:7], v[17:18], v[13:14], v[0:1]
	v_fma_f64 v[8:9], -v[23:24], v[13:14], v[15:16]
	v_fma_f64 v[13:14], v[17:18], v[13:14], -v[0:1]
	s_delay_alu instid0(VALU_DEP_4) | instskip(NEXT) | instid1(VALU_DEP_4)
	v_fma_f64 v[0:1], -v[17:18], v[11:12], v[2:3]
	v_fma_f64 v[2:3], v[23:24], v[11:12], v[6:7]
	s_delay_alu instid0(VALU_DEP_4) | instskip(NEXT) | instid1(VALU_DEP_4)
	v_fma_f64 v[6:7], v[17:18], v[11:12], v[8:9]
	v_fma_f64 v[8:9], v[23:24], v[11:12], v[13:14]
	ds_store_b128 v140, v[0:3] offset:8800
	ds_store_b128 v10, v[6:9] offset:17600
	ds_load_b128 v[0:3], v140 offset:10560
	ds_load_b128 v[6:9], v10 offset:15840
	s_wait_dscnt 0x0
	v_add_f64_e32 v[11:12], v[0:1], v[6:7]
	v_add_f64_e32 v[13:14], v[8:9], v[2:3]
	v_add_f64_e64 v[15:16], v[0:1], -v[6:7]
	v_add_f64_e64 v[0:1], v[2:3], -v[8:9]
	s_wait_loadcnt 0x0
	s_delay_alu instid0(VALU_DEP_2) | instskip(NEXT) | instid1(VALU_DEP_2)
	v_fma_f64 v[2:3], v[15:16], v[21:22], v[11:12]
	v_fma_f64 v[6:7], v[13:14], v[21:22], v[0:1]
	v_fma_f64 v[8:9], -v[15:16], v[21:22], v[11:12]
	v_fma_f64 v[11:12], v[13:14], v[21:22], -v[0:1]
	s_delay_alu instid0(VALU_DEP_4) | instskip(NEXT) | instid1(VALU_DEP_4)
	v_fma_f64 v[0:1], -v[13:14], v[19:20], v[2:3]
	v_fma_f64 v[2:3], v[15:16], v[19:20], v[6:7]
	s_delay_alu instid0(VALU_DEP_4) | instskip(NEXT) | instid1(VALU_DEP_4)
	v_fma_f64 v[6:7], v[13:14], v[19:20], v[8:9]
	v_fma_f64 v[8:9], v[15:16], v[19:20], v[11:12]
	ds_store_b128 v140, v[0:3] offset:10560
	ds_store_b128 v10, v[6:9] offset:15840
	s_and_saveexec_b32 s1, s0
	s_cbranch_execz .LBB0_19
; %bb.18:
	global_load_b128 v[0:3], v[4:5], off offset:12320
	ds_load_b128 v[4:7], v140 offset:12320
	ds_load_b128 v[11:14], v10 offset:14080
	s_wait_dscnt 0x0
	v_add_f64_e32 v[8:9], v[4:5], v[11:12]
	v_add_f64_e32 v[15:16], v[13:14], v[6:7]
	v_add_f64_e64 v[11:12], v[4:5], -v[11:12]
	v_add_f64_e64 v[4:5], v[6:7], -v[13:14]
	s_wait_loadcnt 0x0
	s_delay_alu instid0(VALU_DEP_2) | instskip(NEXT) | instid1(VALU_DEP_2)
	v_fma_f64 v[6:7], v[11:12], v[2:3], v[8:9]
	v_fma_f64 v[13:14], v[15:16], v[2:3], v[4:5]
	v_fma_f64 v[8:9], -v[11:12], v[2:3], v[8:9]
	v_fma_f64 v[17:18], v[15:16], v[2:3], -v[4:5]
	s_delay_alu instid0(VALU_DEP_4) | instskip(NEXT) | instid1(VALU_DEP_4)
	v_fma_f64 v[2:3], -v[15:16], v[0:1], v[6:7]
	v_fma_f64 v[4:5], v[11:12], v[0:1], v[13:14]
	s_delay_alu instid0(VALU_DEP_4) | instskip(NEXT) | instid1(VALU_DEP_4)
	v_fma_f64 v[6:7], v[15:16], v[0:1], v[8:9]
	v_fma_f64 v[8:9], v[11:12], v[0:1], v[17:18]
	ds_store_b128 v140, v[2:5] offset:12320
	ds_store_b128 v10, v[6:9] offset:14080
.LBB0_19:
	s_wait_alu 0xfffe
	s_or_b32 exec_lo, exec_lo, s1
	global_wb scope:SCOPE_SE
	s_wait_dscnt 0x0
	s_barrier_signal -1
	s_barrier_wait -1
	global_inv scope:SCOPE_SE
	global_wb scope:SCOPE_SE
	s_barrier_signal -1
	s_barrier_wait -1
	global_inv scope:SCOPE_SE
	ds_load_b128 v[32:35], v140 offset:2400
	ds_load_b128 v[20:23], v140
	ds_load_b128 v[0:3], v140 offset:1760
	ds_load_b128 v[8:11], v140 offset:4160
	;; [unrolled: 1-line block ×6, first 2 shown]
	s_mov_b32 s2, 0xf8bb580b
	s_mov_b32 s3, 0xbfe14ced
	;; [unrolled: 1-line block ×15, first 2 shown]
	s_wait_dscnt 0x6
	v_add_f64_e32 v[4:5], v[20:21], v[32:33]
	v_add_f64_e32 v[6:7], v[22:23], v[34:35]
	s_mov_b32 s17, 0xbfc2375f
	s_mov_b32 s22, 0x7f775887
	;; [unrolled: 1-line block ×6, first 2 shown]
	s_wait_alu 0xfffe
	s_mov_b32 s26, s14
	s_mov_b32 s29, 0x3fefac9e
	;; [unrolled: 1-line block ×7, first 2 shown]
	v_mad_u32_u24 v65, 0xb0, v64, 0
	s_mov_b32 s33, exec_lo
	s_wait_dscnt 0x3
	s_delay_alu instid0(VALU_DEP_3) | instskip(NEXT) | instid1(VALU_DEP_3)
	v_add_f64_e32 v[4:5], v[4:5], v[44:45]
	v_add_f64_e32 v[6:7], v[6:7], v[46:47]
	s_wait_dscnt 0x1
	s_delay_alu instid0(VALU_DEP_2) | instskip(NEXT) | instid1(VALU_DEP_2)
	v_add_f64_e32 v[12:13], v[4:5], v[52:53]
	v_add_f64_e32 v[14:15], v[6:7], v[54:55]
	ds_load_b128 v[78:81], v140 offset:9600
	ds_load_b128 v[4:7], v140 offset:11360
	s_wait_dscnt 0x1
	v_add_f64_e32 v[16:17], v[12:13], v[78:79]
	v_add_f64_e32 v[18:19], v[14:15], v[80:81]
	ds_load_b128 v[82:85], v140 offset:24000
	ds_load_b128 v[86:89], v140 offset:12000
	;; [unrolled: 1-line block ×4, first 2 shown]
	s_wait_dscnt 0x3
	v_add_f64_e64 v[102:103], v[34:35], -v[84:85]
	v_add_f64_e64 v[104:105], v[32:33], -v[82:83]
	v_add_f64_e32 v[112:113], v[32:33], v[82:83]
	v_add_f64_e32 v[114:115], v[34:35], v[84:85]
	s_wait_dscnt 0x2
	v_add_f64_e32 v[36:37], v[16:17], v[86:87]
	v_add_f64_e32 v[38:39], v[18:19], v[88:89]
	ds_load_b128 v[90:93], v140 offset:21600
	ds_load_b128 v[94:97], v140 offset:14400
	ds_load_b128 v[16:19], v140 offset:23360
	ds_load_b128 v[40:43], v140 offset:16160
	ds_load_b128 v[70:73], v140 offset:19200
	ds_load_b128 v[98:101], v140 offset:16800
	ds_load_b128 v[32:35], v140 offset:20960
	s_wait_dscnt 0x6
	v_add_f64_e64 v[108:109], v[44:45], -v[90:91]
	v_add_f64_e64 v[110:111], v[46:47], -v[92:93]
	v_mul_f64_e32 v[60:61], s[2:3], v[102:103]
	v_mul_f64_e32 v[74:75], s[2:3], v[104:105]
	s_wait_dscnt 0x2
	v_add_f64_e64 v[56:57], v[52:53], -v[70:71]
	v_add_f64_e64 v[116:117], v[54:55], -v[72:73]
	v_add_f64_e32 v[68:69], v[52:53], v[70:71]
	s_wait_dscnt 0x1
	v_add_f64_e64 v[76:77], v[80:81], -v[100:101]
	v_mul_f64_e32 v[132:133], s[10:11], v[102:103]
	v_mul_f64_e32 v[134:135], s[10:11], v[104:105]
	;; [unrolled: 1-line block ×5, first 2 shown]
	v_add_f64_e32 v[58:59], v[36:37], v[94:95]
	v_add_f64_e32 v[62:63], v[38:39], v[96:97]
	;; [unrolled: 1-line block ×4, first 2 shown]
	ds_load_b128 v[44:47], v140 offset:18560
	global_wb scope:SCOPE_SE
	s_wait_dscnt 0x0
	s_barrier_signal -1
	s_barrier_wait -1
	global_inv scope:SCOPE_SE
	v_mul_f64_e32 v[120:121], s[10:11], v[108:109]
	v_mul_f64_e32 v[106:107], s[10:11], v[110:111]
	v_fma_f64 v[118:119], v[112:113], s[6:7], -v[60:61]
	v_fma_f64 v[122:123], v[114:115], s[6:7], v[74:75]
	v_mul_f64_e32 v[130:131], s[12:13], v[56:57]
	v_mul_f64_e32 v[128:129], s[12:13], v[116:117]
	v_fma_f64 v[136:137], v[112:113], s[6:7], v[60:61]
	v_fma_f64 v[138:139], v[114:115], s[6:7], -v[74:75]
	v_add_f64_e64 v[74:75], v[88:89], -v[96:97]
	v_add_f64_e32 v[60:61], v[78:79], v[98:99]
	v_mul_f64_e32 v[147:148], s[20:21], v[110:111]
	v_fma_f64 v[153:154], v[112:113], s[16:17], -v[141:142]
	v_fma_f64 v[141:142], v[112:113], s[16:17], v[141:142]
	v_fma_f64 v[155:156], v[114:115], s[16:17], v[145:146]
	v_fma_f64 v[157:158], v[112:113], s[22:23], -v[143:144]
	v_fma_f64 v[145:146], v[114:115], s[16:17], -v[145:146]
	v_fma_f64 v[143:144], v[112:113], s[22:23], v[143:144]
	v_mul_f64_e32 v[177:178], s[20:21], v[116:117]
	v_add_f64_e32 v[124:125], v[58:59], v[98:99]
	v_add_f64_e32 v[126:127], v[62:63], v[100:101]
	v_add_f64_e32 v[58:59], v[54:55], v[72:73]
	v_add_f64_e64 v[62:63], v[78:79], -v[98:99]
	v_mul_f64_e32 v[78:79], s[20:21], v[104:105]
	v_mul_f64_e32 v[98:99], s[14:15], v[102:103]
	v_add_f64_e32 v[102:103], v[86:87], v[94:95]
	v_fma_f64 v[52:53], v[38:39], s[18:19], -v[106:107]
	v_add_f64_e32 v[54:55], v[20:21], v[118:119]
	v_fma_f64 v[118:119], v[36:37], s[18:19], v[120:121]
	v_add_f64_e32 v[122:123], v[22:23], v[122:123]
	v_fma_f64 v[149:150], v[68:69], s[16:17], -v[128:129]
	v_fma_f64 v[151:152], v[38:39], s[18:19], v[106:107]
	v_add_f64_e32 v[136:137], v[20:21], v[136:137]
	v_add_f64_e32 v[106:107], v[88:89], v[96:97]
	v_add_f64_e32 v[88:89], v[22:23], v[138:139]
	s_wait_alu 0xfffe
	v_mul_f64_e32 v[138:139], s[26:27], v[108:109]
	v_fma_f64 v[165:166], v[38:39], s[22:23], -v[147:148]
	v_fma_f64 v[128:129], v[68:69], s[16:17], v[128:129]
	v_add_f64_e32 v[157:158], v[20:21], v[157:158]
	v_add_f64_e32 v[145:146], v[22:23], v[145:146]
	;; [unrolled: 1-line block ×5, first 2 shown]
	v_add_f64_e64 v[70:71], v[86:87], -v[94:95]
	v_add_f64_e32 v[72:73], v[80:81], v[100:101]
	v_mul_f64_e32 v[80:81], s[14:15], v[104:105]
	v_mul_f64_e32 v[100:101], s[20:21], v[76:77]
	;; [unrolled: 1-line block ×3, first 2 shown]
	v_fma_f64 v[86:87], v[36:37], s[18:19], -v[120:121]
	v_mul_f64_e32 v[94:95], s[14:15], v[74:75]
	v_mul_f64_e32 v[120:121], s[26:27], v[110:111]
	v_fma_f64 v[159:160], v[114:115], s[22:23], v[78:79]
	v_fma_f64 v[161:162], v[112:113], s[24:25], -v[98:99]
	v_fma_f64 v[78:79], v[114:115], s[22:23], -v[78:79]
	v_fma_f64 v[98:99], v[112:113], s[24:25], v[98:99]
	v_mul_f64_e32 v[173:174], s[14:15], v[62:63]
	v_add_f64_e32 v[52:53], v[52:53], v[54:55]
	v_fma_f64 v[54:55], v[58:59], s[16:17], v[130:131]
	v_add_f64_e32 v[118:119], v[118:119], v[122:123]
	v_fma_f64 v[122:123], v[112:113], s[18:19], -v[132:133]
	v_fma_f64 v[132:133], v[112:113], s[18:19], v[132:133]
	v_add_f64_e32 v[136:137], v[151:152], v[136:137]
	v_fma_f64 v[130:131], v[58:59], s[16:17], -v[130:131]
	v_add_f64_e32 v[151:152], v[20:21], v[153:154]
	v_add_f64_e32 v[153:154], v[22:23], v[155:156]
	;; [unrolled: 1-line block ×5, first 2 shown]
	v_mul_f64_e32 v[124:125], s[20:21], v[108:109]
	v_fma_f64 v[126:127], v[114:115], s[18:19], v[134:135]
	v_fma_f64 v[134:135], v[114:115], s[18:19], -v[134:135]
	v_mul_f64_e32 v[96:97], s[14:15], v[70:71]
	v_fma_f64 v[112:113], v[114:115], s[24:25], v[80:81]
	v_fma_f64 v[80:81], v[114:115], s[24:25], -v[80:81]
	v_fma_f64 v[114:115], v[60:61], s[22:23], -v[100:101]
	v_fma_f64 v[163:164], v[72:73], s[22:23], v[104:105]
	v_add_f64_e32 v[86:87], v[86:87], v[88:89]
	v_mul_f64_e32 v[88:89], s[28:29], v[76:77]
	v_add_f64_e32 v[159:160], v[22:23], v[159:160]
	v_add_f64_e32 v[78:79], v[22:23], v[78:79]
	;; [unrolled: 1-line block ×3, first 2 shown]
	v_fma_f64 v[100:101], v[60:61], s[22:23], v[100:101]
	v_fma_f64 v[104:105], v[72:73], s[22:23], -v[104:105]
	v_add_f64_e32 v[149:150], v[149:150], v[52:53]
	v_add_f64_e32 v[118:119], v[54:55], v[118:119]
	v_add_f64_e32 v[122:123], v[20:21], v[122:123]
	v_add_f64_e32 v[132:133], v[20:21], v[132:133]
	v_add_f64_e32 v[20:21], v[20:21], v[98:99]
	v_add_f64_e32 v[128:129], v[128:129], v[136:137]
	v_mul_f64_e32 v[136:137], s[28:29], v[62:63]
	v_add_f64_e32 v[52:53], v[90:91], v[82:83]
	v_add_f64_e32 v[54:55], v[92:93], v[84:85]
	v_fma_f64 v[82:83], v[36:37], s[22:23], v[124:125]
	v_add_f64_e32 v[84:85], v[22:23], v[126:127]
	v_mul_f64_e32 v[90:91], s[26:27], v[116:117]
	v_mul_f64_e32 v[92:93], s[26:27], v[56:57]
	v_fma_f64 v[126:127], v[38:39], s[22:23], v[147:148]
	v_fma_f64 v[124:125], v[36:37], s[22:23], -v[124:125]
	v_add_f64_e32 v[134:135], v[22:23], v[134:135]
	v_mul_f64_e32 v[147:148], s[30:31], v[116:117]
	v_add_f64_e32 v[112:113], v[22:23], v[112:113]
	v_add_f64_e32 v[22:23], v[22:23], v[80:81]
	v_fma_f64 v[80:81], v[102:103], s[24:25], -v[94:95]
	v_fma_f64 v[98:99], v[106:107], s[24:25], v[96:97]
	v_add_f64_e32 v[86:87], v[130:131], v[86:87]
	v_mul_f64_e32 v[130:131], s[30:31], v[56:57]
	v_fma_f64 v[94:95], v[102:103], s[24:25], v[94:95]
	v_fma_f64 v[96:97], v[106:107], s[24:25], -v[96:97]
	v_add_f64_e32 v[114:115], v[114:115], v[149:150]
	v_mul_f64_e32 v[149:150], s[28:29], v[110:111]
	v_add_f64_e32 v[118:119], v[163:164], v[118:119]
	v_fma_f64 v[163:164], v[38:39], s[24:25], -v[120:121]
	v_add_f64_e32 v[122:123], v[165:166], v[122:123]
	v_fma_f64 v[165:166], v[36:37], s[24:25], v[138:139]
	v_fma_f64 v[120:121], v[38:39], s[24:25], v[120:121]
	v_fma_f64 v[138:139], v[36:37], s[24:25], -v[138:139]
	v_add_f64_e32 v[100:101], v[100:101], v[128:129]
	v_mul_f64_e32 v[128:129], s[2:3], v[62:63]
	v_add_f64_e32 v[82:83], v[82:83], v[84:85]
	v_mul_f64_e32 v[84:85], s[28:29], v[108:109]
	v_mul_f64_e32 v[108:109], s[34:35], v[108:109]
	v_add_f64_e32 v[126:127], v[126:127], v[132:133]
	v_fma_f64 v[132:133], v[68:69], s[24:25], -v[90:91]
	v_add_f64_e32 v[124:125], v[124:125], v[134:135]
	v_fma_f64 v[134:135], v[58:59], s[24:25], v[92:93]
	v_fma_f64 v[90:91], v[68:69], s[24:25], v[90:91]
	v_fma_f64 v[92:93], v[58:59], s[24:25], -v[92:93]
	v_add_f64_e32 v[86:87], v[104:105], v[86:87]
	v_mul_f64_e32 v[104:105], s[2:3], v[56:57]
	v_add_f64_e32 v[141:142], v[80:81], v[114:115]
	v_mul_f64_e32 v[80:81], s[34:35], v[74:75]
	;; [unrolled: 2-line block ×4, first 2 shown]
	v_add_f64_e32 v[151:152], v[165:166], v[153:154]
	v_fma_f64 v[153:154], v[38:39], s[16:17], -v[149:150]
	v_add_f64_e32 v[120:121], v[120:121], v[155:156]
	v_mul_f64_e32 v[155:156], s[2:3], v[116:117]
	v_add_f64_e32 v[138:139], v[138:139], v[145:146]
	v_mul_f64_e32 v[165:166], s[34:35], v[110:111]
	v_fma_f64 v[149:150], v[38:39], s[16:17], v[149:150]
	v_fma_f64 v[175:176], v[72:73], s[6:7], -v[128:129]
	v_fma_f64 v[145:146], v[36:37], s[16:17], v[84:85]
	v_fma_f64 v[84:85], v[36:37], s[16:17], -v[84:85]
	v_add_f64_e32 v[122:123], v[132:133], v[122:123]
	v_fma_f64 v[132:133], v[68:69], s[18:19], -v[147:148]
	v_add_f64_e32 v[82:83], v[134:135], v[82:83]
	;; [unrolled: 2-line block ×3, first 2 shown]
	v_fma_f64 v[126:127], v[72:73], s[16:17], v[136:137]
	v_add_f64_e32 v[92:93], v[92:93], v[124:125]
	v_fma_f64 v[124:125], v[58:59], s[18:19], v[130:131]
	v_fma_f64 v[147:148], v[68:69], s[18:19], v[147:148]
	v_fma_f64 v[130:131], v[58:59], s[18:19], -v[130:131]
	v_fma_f64 v[88:89], v[60:61], s[16:17], v[88:89]
	v_fma_f64 v[136:137], v[72:73], s[16:17], -v[136:137]
	v_fma_f64 v[163:164], v[102:103], s[6:7], -v[80:81]
	v_fma_f64 v[80:81], v[102:103], s[6:7], v[80:81]
	v_fma_f64 v[171:172], v[60:61], s[6:7], -v[118:119]
	v_fma_f64 v[118:119], v[60:61], s[6:7], v[118:119]
	v_add_f64_e32 v[110:111], v[153:154], v[157:158]
	v_mul_f64_e32 v[153:154], s[20:21], v[74:75]
	v_fma_f64 v[169:170], v[68:69], s[6:7], -v[155:156]
	v_fma_f64 v[179:180], v[68:69], s[6:7], v[155:156]
	v_fma_f64 v[116:117], v[38:39], s[6:7], -v[165:166]
	v_add_f64_e32 v[167:168], v[149:150], v[167:168]
	v_fma_f64 v[38:39], v[38:39], s[6:7], v[165:166]
	v_add_f64_e32 v[157:158], v[145:146], v[159:160]
	v_mul_f64_e32 v[159:160], s[20:21], v[70:71]
	v_add_f64_e32 v[78:79], v[84:85], v[78:79]
	v_fma_f64 v[84:85], v[58:59], s[6:7], -v[104:105]
	v_add_f64_e32 v[114:115], v[132:133], v[114:115]
	v_add_f64_e32 v[132:133], v[10:11], v[14:15]
	;; [unrolled: 1-line block ×3, first 2 shown]
	v_fma_f64 v[134:135], v[106:107], s[6:7], v[98:99]
	v_add_f64_e32 v[82:83], v[126:127], v[82:83]
	v_mul_f64_e32 v[126:127], s[14:15], v[76:77]
	v_add_f64_e32 v[124:125], v[124:125], v[151:152]
	v_add_f64_e32 v[120:121], v[147:148], v[120:121]
	;; [unrolled: 1-line block ×3, first 2 shown]
	v_fma_f64 v[138:139], v[72:73], s[6:7], v[128:129]
	v_add_f64_e32 v[88:89], v[88:89], v[90:91]
	v_fma_f64 v[90:91], v[58:59], s[6:7], v[104:105]
	v_add_f64_e32 v[136:137], v[136:137], v[92:93]
	v_fma_f64 v[98:99], v[106:107], s[6:7], -v[98:99]
	v_add_f64_e64 v[128:129], v[10:11], -v[14:15]
	v_add_f64_e32 v[145:146], v[94:95], v[100:101]
	v_add_f64_e32 v[147:148], v[96:97], v[86:87]
	v_fma_f64 v[86:87], v[36:37], s[6:7], v[108:109]
	v_mul_f64_e32 v[94:95], s[20:21], v[56:57]
	v_add_f64_e32 v[56:57], v[8:9], v[12:13]
	v_add_f64_e64 v[92:93], v[26:27], -v[18:19]
	v_fma_f64 v[36:37], v[36:37], s[6:7], -v[108:109]
	v_add_f64_e32 v[167:168], v[179:180], v[167:168]
	v_mul_f64_e32 v[179:180], s[12:13], v[70:71]
	v_add_f64_e32 v[20:21], v[38:39], v[20:21]
	v_add_f64_e32 v[78:79], v[84:85], v[78:79]
	;; [unrolled: 1-line block ×3, first 2 shown]
	v_mul_f64_e32 v[100:101], s[16:17], v[132:133]
	v_add_f64_e32 v[149:150], v[163:164], v[122:123]
	v_fma_f64 v[122:123], v[106:107], s[22:23], v[159:160]
	v_add_f64_e32 v[151:152], v[134:135], v[82:83]
	v_add_f64_e32 v[82:83], v[169:170], v[110:111]
	v_mul_f64_e32 v[134:135], s[30:31], v[74:75]
	v_fma_f64 v[110:111], v[102:103], s[22:23], -v[153:154]
	v_add_f64_e32 v[118:119], v[118:119], v[120:121]
	v_add_f64_e32 v[114:115], v[138:139], v[124:125]
	v_fma_f64 v[124:125], v[60:61], s[24:25], -v[126:127]
	v_add_f64_e32 v[90:91], v[90:91], v[157:158]
	v_fma_f64 v[120:121], v[72:73], s[24:25], v[173:174]
	v_add_f64_e32 v[130:131], v[175:176], v[130:131]
	v_mul_f64_e32 v[138:139], s[30:31], v[70:71]
	v_fma_f64 v[163:164], v[102:103], s[22:23], v[153:154]
	v_fma_f64 v[169:170], v[106:107], s[22:23], -v[159:160]
	v_add_f64_e32 v[153:154], v[80:81], v[88:89]
	v_add_f64_e32 v[155:156], v[98:99], v[136:137]
	v_add_f64_e64 v[80:81], v[8:9], -v[12:13]
	v_mul_f64_e32 v[98:99], s[30:31], v[76:77]
	v_fma_f64 v[76:77], v[68:69], s[22:23], -v[177:178]
	v_add_f64_e32 v[136:137], v[116:117], v[161:162]
	v_add_f64_e32 v[116:117], v[26:27], v[18:19]
	v_mul_f64_e32 v[96:97], s[12:13], v[128:129]
	v_fma_f64 v[126:127], v[60:61], s[24:25], v[126:127]
	v_fma_f64 v[171:172], v[72:73], s[24:25], -v[173:174]
	v_add_f64_e32 v[84:85], v[86:87], v[112:113]
	v_fma_f64 v[86:87], v[58:59], s[22:23], v[94:95]
	v_mul_f64_e32 v[112:113], s[30:31], v[62:63]
	v_add_f64_e32 v[62:63], v[24:25], v[16:17]
	v_add_f64_e64 v[88:89], v[24:25], -v[16:17]
	v_add_f64_e32 v[70:71], v[28:29], v[32:33]
	v_fma_f64 v[68:69], v[68:69], s[22:23], v[177:178]
	v_fma_f64 v[58:59], v[58:59], s[22:23], -v[94:95]
	v_add_f64_e32 v[22:23], v[36:37], v[22:23]
	v_add_f64_e32 v[157:158], v[110:111], v[104:105]
	v_add_f64_e64 v[110:111], v[30:31], -v[34:35]
	v_add_f64_e32 v[159:160], v[122:123], v[114:115]
	v_add_f64_e32 v[82:83], v[124:125], v[82:83]
	v_fma_f64 v[114:115], v[102:103], s[18:19], -v[134:135]
	v_add_f64_e32 v[90:91], v[120:121], v[90:91]
	v_add_f64_e32 v[122:123], v[30:31], v[34:35]
	v_fma_f64 v[120:121], v[106:107], s[18:19], v[138:139]
	v_add_f64_e32 v[161:162], v[163:164], v[118:119]
	v_add_f64_e32 v[163:164], v[169:170], v[130:131]
	v_mul_f64_e32 v[118:119], s[12:13], v[74:75]
	v_mul_f64_e32 v[104:105], s[26:27], v[92:93]
	v_fma_f64 v[138:139], v[106:107], s[18:19], -v[138:139]
	v_fma_f64 v[74:75], v[60:61], s[18:19], -v[98:99]
	v_fma_f64 v[60:61], v[60:61], s[18:19], v[98:99]
	v_add_f64_e32 v[124:125], v[76:77], v[136:137]
	v_mul_f64_e32 v[108:109], s[24:25], v[116:117]
	v_fma_f64 v[130:131], v[56:57], s[16:17], -v[96:97]
	v_fma_f64 v[136:137], v[80:81], s[12:13], v[100:101]
	v_add_f64_e32 v[126:127], v[126:127], v[167:168]
	v_add_f64_e32 v[78:79], v[171:172], v[78:79]
	;; [unrolled: 1-line block ×3, first 2 shown]
	v_fma_f64 v[173:174], v[72:73], s[18:19], v[112:113]
	v_add_f64_e64 v[76:77], v[28:29], -v[32:33]
	v_fma_f64 v[134:135], v[102:103], s[18:19], v[134:135]
	v_fma_f64 v[72:73], v[72:73], s[18:19], -v[112:113]
	v_add_f64_e32 v[20:21], v[68:69], v[20:21]
	v_add_f64_e32 v[98:99], v[50:51], v[42:43]
	;; [unrolled: 1-line block ×3, first 2 shown]
	v_mul_f64_e32 v[84:85], s[30:31], v[110:111]
	v_add_f64_e32 v[165:166], v[114:115], v[82:83]
	v_add_f64_e32 v[167:168], v[120:121], v[90:91]
	v_mul_f64_e32 v[90:91], s[18:19], v[122:123]
	v_fma_f64 v[82:83], v[102:103], s[16:17], -v[118:119]
	v_fma_f64 v[38:39], v[62:63], s[24:25], -v[104:105]
	v_fma_f64 v[102:103], v[102:103], s[16:17], v[118:119]
	v_mul_f64_e32 v[118:119], s[2:3], v[110:111]
	v_add_f64_e32 v[74:75], v[74:75], v[124:125]
	v_fma_f64 v[94:95], v[88:89], s[26:27], v[108:109]
	v_add_f64_e32 v[36:37], v[0:1], v[130:131]
	v_add_f64_e32 v[114:115], v[2:3], v[136:137]
	v_add_f64_e64 v[130:131], v[6:7], -v[46:47]
	v_add_f64_e32 v[171:172], v[138:139], v[78:79]
	v_add_f64_e32 v[138:139], v[6:7], v[46:47]
	;; [unrolled: 1-line block ×3, first 2 shown]
	v_add_f64_e64 v[78:79], v[4:5], -v[44:45]
	v_add_f64_e32 v[169:170], v[134:135], v[126:127]
	v_fma_f64 v[124:125], v[106:107], s[16:17], v[179:180]
	v_add_f64_e32 v[20:21], v[60:61], v[20:21]
	v_fma_f64 v[106:107], v[106:107], s[16:17], -v[179:180]
	v_add_f64_e32 v[22:23], v[72:73], v[22:23]
	v_add_f64_e64 v[60:61], v[48:49], -v[40:41]
	v_mul_f64_e32 v[72:73], s[22:23], v[98:99]
	v_mul_f64_e32 v[134:135], s[20:21], v[128:129]
	;; [unrolled: 1-line block ×4, first 2 shown]
	v_fma_f64 v[68:69], v[76:77], s[30:31], v[90:91]
	v_add_f64_e32 v[173:174], v[82:83], v[74:75]
	v_add_f64_e32 v[74:75], v[4:5], v[44:45]
	;; [unrolled: 1-line block ×3, first 2 shown]
	v_fma_f64 v[38:39], v[70:71], s[18:19], -v[84:85]
	v_add_f64_e32 v[58:59], v[94:95], v[114:115]
	v_mul_f64_e32 v[82:83], s[2:3], v[130:131]
	v_add_f64_e64 v[94:95], v[50:51], -v[42:43]
	v_mul_f64_e32 v[86:87], s[6:7], v[138:139]
	v_add_f64_e32 v[175:176], v[124:125], v[120:121]
	v_add_f64_e32 v[177:178], v[102:103], v[20:21]
	v_mul_f64_e32 v[124:125], s[28:29], v[92:93]
	v_add_f64_e32 v[179:180], v[106:107], v[22:23]
	v_mul_f64_e32 v[120:121], s[6:7], v[122:123]
	ds_store_b128 v65, v[149:152] offset:32
	ds_store_b128 v65, v[157:160] offset:48
	;; [unrolled: 1-line block ×9, first 2 shown]
	ds_store_b128 v65, v[52:55]
	ds_store_b128 v65, v[141:144] offset:16
	v_add_f64_e32 v[36:37], v[38:39], v[36:37]
	v_add_f64_e32 v[38:39], v[68:69], v[58:59]
	v_fma_f64 v[112:113], v[74:75], s[6:7], -v[82:83]
	v_add_f64_e32 v[58:59], v[48:49], v[40:41]
	v_mul_f64_e32 v[68:69], s[20:21], v[94:95]
	v_fma_f64 v[114:115], v[78:79], s[2:3], v[86:87]
	v_fma_f64 v[102:103], v[88:89], s[28:29], v[126:127]
	v_add_f64_e32 v[20:21], v[112:113], v[36:37]
	v_mul_f64_e32 v[112:113], s[14:15], v[130:131]
	v_fma_f64 v[36:37], v[58:59], s[22:23], -v[68:69]
	v_add_f64_e32 v[22:23], v[114:115], v[38:39]
	v_fma_f64 v[38:39], v[60:61], s[20:21], v[72:73]
	v_mul_f64_e32 v[114:115], s[24:25], v[138:139]
	s_delay_alu instid0(VALU_DEP_4) | instskip(SKIP_1) | instid1(VALU_DEP_4)
	v_add_f64_e32 v[20:21], v[36:37], v[20:21]
	v_fma_f64 v[36:37], v[56:57], s[22:23], -v[134:135]
	v_add_f64_e32 v[22:23], v[38:39], v[22:23]
	v_fma_f64 v[38:39], v[62:63], s[16:17], -v[124:125]
	s_delay_alu instid0(VALU_DEP_3) | instskip(NEXT) | instid1(VALU_DEP_1)
	v_add_f64_e32 v[36:37], v[0:1], v[36:37]
	v_add_f64_e32 v[36:37], v[38:39], v[36:37]
	v_fma_f64 v[38:39], v[80:81], s[20:21], v[136:137]
	s_delay_alu instid0(VALU_DEP_1) | instskip(NEXT) | instid1(VALU_DEP_1)
	v_add_f64_e32 v[38:39], v[2:3], v[38:39]
	v_add_f64_e32 v[38:39], v[102:103], v[38:39]
	v_fma_f64 v[102:103], v[70:71], s[6:7], -v[118:119]
	s_delay_alu instid0(VALU_DEP_1) | instskip(SKIP_1) | instid1(VALU_DEP_1)
	v_add_f64_e32 v[36:37], v[102:103], v[36:37]
	v_fma_f64 v[102:103], v[76:77], s[2:3], v[120:121]
	v_add_f64_e32 v[38:39], v[102:103], v[38:39]
	v_fma_f64 v[102:103], v[74:75], s[24:25], -v[112:113]
	s_delay_alu instid0(VALU_DEP_1) | instskip(SKIP_1) | instid1(VALU_DEP_1)
	v_add_f64_e32 v[36:37], v[102:103], v[36:37]
	v_fma_f64 v[102:103], v[78:79], s[14:15], v[114:115]
	v_add_f64_e32 v[38:39], v[102:103], v[38:39]
	v_mul_f64_e32 v[102:103], s[30:31], v[94:95]
	s_delay_alu instid0(VALU_DEP_1) | instskip(NEXT) | instid1(VALU_DEP_1)
	v_fma_f64 v[106:107], v[58:59], s[18:19], -v[102:103]
	v_add_f64_e32 v[36:37], v[106:107], v[36:37]
	v_mul_f64_e32 v[106:107], s[18:19], v[98:99]
	s_delay_alu instid0(VALU_DEP_1) | instskip(NEXT) | instid1(VALU_DEP_1)
	v_fma_f64 v[181:182], v[60:61], s[30:31], v[106:107]
	v_add_f64_e32 v[38:39], v[181:182], v[38:39]
	v_cmpx_gt_u32_e32 40, v64
	s_cbranch_execz .LBB0_21
; %bb.20:
	v_add_f64_e32 v[10:11], v[2:3], v[10:11]
	v_add_f64_e32 v[8:9], v[0:1], v[8:9]
	v_mul_f64_e32 v[52:53], s[24:25], v[132:133]
	v_mul_f64_e32 v[54:55], s[14:15], v[128:129]
	;; [unrolled: 1-line block ×16, first 2 shown]
	s_mov_b32 s37, 0x3fe82f19
	s_mov_b32 s36, s20
	v_mul_f64_e32 v[147:148], s[2:3], v[76:77]
	v_mul_f64_e32 v[153:154], s[6:7], v[70:71]
	;; [unrolled: 1-line block ×16, first 2 shown]
	v_add_f64_e32 v[10:11], v[10:11], v[26:27]
	v_add_f64_e32 v[8:9], v[8:9], v[24:25]
	v_mul_f64_e32 v[24:25], s[20:21], v[80:81]
	v_mul_f64_e32 v[26:27], s[22:23], v[56:57]
	v_fma_f64 v[187:188], v[80:81], s[26:27], v[52:53]
	v_fma_f64 v[189:190], v[56:57], s[24:25], v[54:55]
	;; [unrolled: 1-line block ×3, first 2 shown]
	v_fma_f64 v[54:55], v[56:57], s[24:25], -v[54:55]
	v_add_f64_e64 v[126:127], v[126:127], -v[149:150]
	v_add_f64_e32 v[124:125], v[155:156], v[124:125]
	v_add_f64_e64 v[108:109], v[108:109], -v[161:162]
	v_add_f64_e32 v[104:105], v[163:164], v[104:105]
	v_fma_f64 v[149:150], v[88:89], s[34:35], v[171:172]
	v_fma_f64 v[155:156], v[88:89], s[36:37], v[175:176]
	;; [unrolled: 1-line block ×4, first 2 shown]
	v_fma_f64 v[175:176], v[62:63], s[22:23], -v[183:184]
	v_add_f64_e64 v[120:121], v[120:121], -v[147:148]
	v_add_f64_e32 v[118:119], v[153:154], v[118:119]
	v_add_f64_e64 v[90:91], v[90:91], -v[159:160]
	v_fma_f64 v[147:148], v[76:77], s[20:21], v[169:170]
	v_fma_f64 v[153:154], v[76:77], s[14:15], v[173:174]
	;; [unrolled: 1-line block ×3, first 2 shown]
	v_fma_f64 v[173:174], v[70:71], s[22:23], -v[185:186]
	v_add_f64_e64 v[86:87], v[86:87], -v[157:158]
	v_add_f64_e32 v[10:11], v[10:11], v[30:31]
	v_add_f64_e32 v[8:9], v[8:9], v[28:29]
	v_mul_f64_e32 v[28:29], s[12:13], v[80:81]
	v_mul_f64_e32 v[30:31], s[16:17], v[56:57]
	v_add_f64_e64 v[24:25], v[136:137], -v[24:25]
	v_add_f64_e32 v[26:27], v[26:27], v[134:135]
	v_fma_f64 v[134:135], v[80:81], s[10:11], v[141:142]
	v_fma_f64 v[136:137], v[56:57], s[18:19], -v[143:144]
	v_add_f64_e32 v[52:53], v[2:3], v[52:53]
	v_add_f64_e32 v[54:55], v[0:1], v[54:55]
	;; [unrolled: 1-line block ×4, first 2 shown]
	v_add_f64_e64 v[28:29], v[100:101], -v[28:29]
	v_add_f64_e32 v[30:31], v[30:31], v[96:97]
	v_fma_f64 v[96:97], v[80:81], s[30:31], v[141:142]
	v_fma_f64 v[100:101], v[56:57], s[18:19], v[143:144]
	v_fma_f64 v[141:142], v[80:81], s[34:35], v[132:133]
	v_fma_f64 v[80:81], v[80:81], s[2:3], v[132:133]
	v_fma_f64 v[132:133], v[56:57], s[6:7], -v[128:129]
	v_mul_f64_e32 v[10:11], s[18:19], v[70:71]
	v_fma_f64 v[143:144], v[88:89], s[2:3], v[171:172]
	v_fma_f64 v[88:89], v[88:89], s[10:11], v[116:117]
	;; [unrolled: 1-line block ×3, first 2 shown]
	v_fma_f64 v[171:172], v[62:63], s[6:7], -v[179:180]
	v_fma_f64 v[179:180], v[62:63], s[22:23], v[183:184]
	v_fma_f64 v[183:184], v[62:63], s[18:19], v[92:93]
	v_fma_f64 v[62:63], v[62:63], s[18:19], -v[92:93]
	v_add_f64_e32 v[92:93], v[2:3], v[187:188]
	v_add_f64_e32 v[187:188], v[0:1], v[189:190]
	;; [unrolled: 1-line block ×6, first 2 shown]
	v_mul_f64_e32 v[8:9], s[6:7], v[74:75]
	v_add_f64_e32 v[52:53], v[149:150], v[52:53]
	v_add_f64_e32 v[6:7], v[6:7], v[50:51]
	;; [unrolled: 1-line block ×3, first 2 shown]
	v_fma_f64 v[48:49], v[56:57], s[6:7], v[128:129]
	v_mul_f64_e32 v[50:51], s[26:27], v[110:111]
	v_mul_f64_e32 v[56:57], s[12:13], v[110:111]
	v_add_f64_e32 v[28:29], v[2:3], v[28:29]
	v_add_f64_e32 v[30:31], v[0:1], v[30:31]
	;; [unrolled: 1-line block ×8, first 2 shown]
	v_fma_f64 v[84:85], v[76:77], s[36:37], v[169:170]
	v_fma_f64 v[169:170], v[76:77], s[28:29], v[122:123]
	;; [unrolled: 1-line block ×4, first 2 shown]
	v_add_f64_e32 v[54:55], v[171:172], v[54:55]
	v_mul_f64_e32 v[132:133], s[18:19], v[58:59]
	v_add_f64_e32 v[26:27], v[124:125], v[26:27]
	v_mul_f64_e32 v[110:111], s[22:23], v[58:59]
	v_add_f64_e32 v[124:125], v[175:176], v[136:137]
	v_add_f64_e32 v[24:25], v[126:127], v[24:25]
	;; [unrolled: 1-line block ×3, first 2 shown]
	v_fma_f64 v[82:83], v[78:79], s[10:11], v[165:166]
	v_fma_f64 v[136:137], v[74:75], s[18:19], -v[177:178]
	v_add_f64_e32 v[52:53], v[147:148], v[52:53]
	v_mul_f64_e32 v[128:129], s[20:21], v[60:61]
	v_fma_f64 v[126:127], v[78:79], s[36:37], v[138:139]
	v_add_f64_e32 v[6:7], v[6:7], v[42:43]
	v_add_f64_e32 v[4:5], v[4:5], v[40:41]
	v_add_f64_e32 v[0:1], v[0:1], v[48:49]
	v_fma_f64 v[185:186], v[70:71], s[24:25], -v[50:51]
	v_fma_f64 v[50:51], v[70:71], s[24:25], v[50:51]
	v_fma_f64 v[189:190], v[70:71], s[16:17], v[56:57]
	v_fma_f64 v[56:57], v[70:71], s[16:17], -v[56:57]
	v_add_f64_e32 v[70:71], v[143:144], v[92:93]
	v_add_f64_e32 v[92:93], v[116:117], v[187:188]
	;; [unrolled: 1-line block ×10, first 2 shown]
	v_mul_f64_e32 v[40:41], s[16:17], v[98:99]
	v_mul_f64_e32 v[42:43], s[12:13], v[94:95]
	;; [unrolled: 1-line block ×4, first 2 shown]
	v_fma_f64 v[134:135], v[74:75], s[18:19], v[177:178]
	v_fma_f64 v[141:142], v[74:75], s[16:17], -v[181:182]
	v_fma_f64 v[108:109], v[78:79], s[30:31], v[165:166]
	v_add_f64_e32 v[54:55], v[173:174], v[54:55]
	v_mul_f64_e32 v[48:49], s[30:31], v[60:61]
	v_add_f64_e32 v[24:25], v[120:121], v[24:25]
	v_add_f64_e32 v[26:27], v[118:119], v[26:27]
	v_fma_f64 v[143:144], v[74:75], s[22:23], v[130:131]
	v_add_f64_e64 v[72:73], v[72:73], -v[128:129]
	v_add_f64_e32 v[68:69], v[110:111], v[68:69]
	v_add_f64_e32 v[6:7], v[6:7], v[46:47]
	;; [unrolled: 1-line block ×4, first 2 shown]
	v_mul_f64_e32 v[44:45], s[6:7], v[98:99]
	v_mul_f64_e32 v[46:47], s[34:35], v[94:95]
	v_add_f64_e64 v[94:95], v[114:115], -v[145:146]
	v_fma_f64 v[114:115], v[78:79], s[28:29], v[167:168]
	v_add_f64_e32 v[70:71], v[84:85], v[70:71]
	v_add_f64_e32 v[84:85], v[122:123], v[92:93]
	;; [unrolled: 1-line block ×7, first 2 shown]
	v_fma_f64 v[112:113], v[78:79], s[12:13], v[167:168]
	v_fma_f64 v[78:79], v[78:79], s[20:21], v[138:139]
	;; [unrolled: 1-line block ×3, first 2 shown]
	v_add_f64_e32 v[30:31], v[153:154], v[96:97]
	v_add_f64_e32 v[50:51], v[50:51], v[100:101]
	v_fma_f64 v[74:75], v[74:75], s[22:23], -v[130:131]
	v_add_f64_e32 v[2:3], v[76:77], v[2:3]
	v_add_f64_e32 v[56:57], v[56:57], v[62:63]
	;; [unrolled: 1-line block ×3, first 2 shown]
	v_fma_f64 v[100:101], v[60:61], s[26:27], v[80:81]
	v_add_f64_e32 v[52:53], v[108:109], v[52:53]
	v_add_f64_e32 v[54:55], v[136:137], v[54:55]
	v_add_f64_e64 v[48:49], v[106:107], -v[48:49]
	v_add_f64_e32 v[62:63], v[132:133], v[102:103]
	v_fma_f64 v[102:103], v[58:59], s[24:25], v[88:89]
	v_add_f64_e32 v[6:7], v[6:7], v[34:35]
	v_add_f64_e32 v[4:5], v[4:5], v[32:33]
	;; [unrolled: 1-line block ×3, first 2 shown]
	v_fma_f64 v[32:33], v[60:61], s[28:29], v[40:41]
	v_fma_f64 v[40:41], v[60:61], s[12:13], v[40:41]
	;; [unrolled: 1-line block ×5, first 2 shown]
	v_fma_f64 v[46:47], v[58:59], s[6:7], -v[46:47]
	v_fma_f64 v[60:61], v[60:61], s[14:15], v[80:81]
	v_add_f64_e32 v[70:71], v[82:83], v[70:71]
	v_add_f64_e32 v[80:81], v[134:135], v[84:85]
	;; [unrolled: 1-line block ×4, first 2 shown]
	v_fma_f64 v[34:35], v[58:59], s[16:17], v[42:43]
	v_fma_f64 v[42:43], v[58:59], s[16:17], -v[42:43]
	v_add_f64_e32 v[24:25], v[94:95], v[24:25]
	v_add_f64_e32 v[26:27], v[98:99], v[26:27]
	;; [unrolled: 1-line block ×6, first 2 shown]
	v_fma_f64 v[58:59], v[58:59], s[24:25], -v[88:89]
	v_add_f64_e32 v[78:79], v[78:79], v[2:3]
	v_add_f64_e32 v[56:57], v[74:75], v[56:57]
	;; [unrolled: 1-line block ×18, first 2 shown]
	v_mul_u32_u24_e32 v44, 0xb0, v64
	v_add_f64_e32 v[42:43], v[60:61], v[78:79]
	v_add_f64_e32 v[40:41], v[58:59], v[56:57]
	;; [unrolled: 1-line block ×3, first 2 shown]
	s_delay_alu instid0(VALU_DEP_4)
	v_add_nc_u32_e32 v44, 0, v44
	v_add_f64_e32 v[14:15], v[74:75], v[14:15]
	v_add_f64_e32 v[12:13], v[90:91], v[12:13]
	;; [unrolled: 1-line block ×3, first 2 shown]
	ds_store_b128 v44, v[20:23] offset:19408
	ds_store_b128 v44, v[16:19] offset:19392
	;; [unrolled: 1-line block ×11, first 2 shown]
.LBB0_21:
	s_or_b32 exec_lo, exec_lo, s33
	global_wb scope:SCOPE_SE
	s_wait_dscnt 0x0
	s_barrier_signal -1
	s_barrier_wait -1
	global_inv scope:SCOPE_SE
	ds_load_b128 v[4:7], v140
	ds_load_b128 v[8:11], v140 offset:1760
	ds_load_b128 v[32:35], v140 offset:14960
	;; [unrolled: 1-line block ×13, first 2 shown]
	s_and_saveexec_b32 s1, s0
	s_cbranch_execz .LBB0_23
; %bb.22:
	ds_load_b128 v[20:23], v140 offset:12320
	ds_load_b128 v[36:39], v140 offset:25520
.LBB0_23:
	s_wait_alu 0xfffe
	s_or_b32 exec_lo, exec_lo, s1
	v_add_nc_u32_e32 v68, 0x6e, v64
	v_and_b32_e32 v69, 0xff, v64
	v_add_nc_u32_e32 v72, 0x14a, v64
	v_add_nc_u32_e32 v71, 0x1b8, v64
	;; [unrolled: 1-line block ×3, first 2 shown]
	v_and_b32_e32 v70, 0xff, v68
	v_mul_lo_u16 v73, 0x75, v69
	v_add_nc_u32_e32 v76, 0x226, v64
	v_and_b32_e32 v80, 0xffff, v71
	v_and_b32_e32 v69, 0xffff, v65
	v_mul_lo_u16 v74, 0x75, v70
	v_lshrrev_b16 v78, 8, v73
	v_and_b32_e32 v73, 0xffff, v72
	v_add_nc_u32_e32 v77, 0x294, v64
	v_and_b32_e32 v81, 0xffff, v76
	v_lshrrev_b16 v79, 8, v74
	v_sub_nc_u16 v82, v64, v78
	v_mul_u32_u24_e32 v74, 0xba2f, v73
	v_mul_u32_u24_e32 v73, 0xba2f, v80
	;; [unrolled: 1-line block ×3, first 2 shown]
	v_sub_nc_u16 v84, v68, v79
	v_lshrrev_b16 v82, 1, v82
	v_and_b32_e32 v83, 0xffff, v77
	v_mul_u32_u24_e32 v81, 0xba2f, v81
	v_lshrrev_b32_e32 v118, 19, v75
	v_lshrrev_b16 v80, 1, v84
	v_and_b32_e32 v82, 0x7f, v82
	v_mul_u32_u24_e32 v83, 0xba2f, v83
	v_lshrrev_b32_e32 v121, 19, v81
	v_lshrrev_b32_e32 v119, 19, v74
	v_and_b32_e32 v80, 0x7f, v80
	v_add_nc_u16 v78, v82, v78
	v_lshrrev_b32_e32 v120, 19, v73
	v_lshrrev_b32_e32 v122, 19, v83
	v_mul_lo_u16 v81, v121, 11
	v_add_nc_u16 v79, v80, v79
	v_lshrrev_b16 v123, 3, v78
	v_mul_lo_u16 v80, v118, 11
	v_mul_lo_u16 v78, v119, 11
	;; [unrolled: 1-line block ×3, first 2 shown]
	v_lshrrev_b16 v124, 3, v79
	v_mul_lo_u16 v82, v123, 11
	v_mul_lo_u16 v79, v120, 11
	v_sub_nc_u16 v80, v65, v80
	v_sub_nc_u16 v76, v76, v81
	v_mul_lo_u16 v84, v124, 11
	v_sub_nc_u16 v82, v64, v82
	v_sub_nc_u16 v78, v72, v78
	;; [unrolled: 1-line block ×3, first 2 shown]
	v_and_b32_e32 v80, 0xffff, v80
	v_sub_nc_u16 v84, v68, v84
	v_and_b32_e32 v81, 0xff, v82
	v_sub_nc_u16 v77, v77, v83
	v_and_b32_e32 v83, 0xffff, v78
	v_lshlrev_b32_e32 v127, 4, v80
	v_and_b32_e32 v82, 0xff, v84
	v_lshlrev_b32_e32 v125, 4, v81
	v_and_b32_e32 v84, 0xffff, v79
	v_and_b32_e32 v88, 0xffff, v76
	;; [unrolled: 1-line block ×3, first 2 shown]
	v_lshlrev_b32_e32 v126, 4, v82
	global_load_b128 v[76:79], v125, s[4:5]
	v_lshlrev_b32_e32 v128, 4, v83
	v_lshlrev_b32_e32 v129, 4, v84
	s_clause 0x1
	global_load_b128 v[84:87], v127, s[4:5]
	global_load_b128 v[80:83], v126, s[4:5]
	v_lshlrev_b32_e32 v130, 4, v88
	global_load_b128 v[88:91], v128, s[4:5]
	v_lshlrev_b32_e32 v131, 4, v92
	s_clause 0x2
	global_load_b128 v[92:95], v129, s[4:5]
	global_load_b128 v[96:99], v130, s[4:5]
	global_load_b128 v[100:103], v131, s[4:5]
	global_wb scope:SCOPE_SE
	s_wait_loadcnt_dscnt 0x0
	s_barrier_signal -1
	s_barrier_wait -1
	global_inv scope:SCOPE_SE
	v_mul_f64_e32 v[104:105], v[62:63], v[78:79]
	v_mul_f64_e32 v[78:79], v[60:61], v[78:79]
	;; [unrolled: 1-line block ×14, first 2 shown]
	v_fma_f64 v[60:61], v[60:61], v[76:77], -v[104:105]
	v_fma_f64 v[62:63], v[62:63], v[76:77], v[78:79]
	v_fma_f64 v[76:77], v[32:33], v[80:81], -v[106:107]
	v_fma_f64 v[78:79], v[34:35], v[80:81], v[82:83]
	;; [unrolled: 2-line block ×7, first 2 shown]
	v_add_f64_e64 v[32:33], v[4:5], -v[60:61]
	v_add_f64_e64 v[34:35], v[6:7], -v[62:63]
	;; [unrolled: 1-line block ×14, first 2 shown]
	v_and_b32_e32 v80, 0xffff, v123
	v_and_b32_e32 v82, 0xffff, v124
	v_mul_u32_u24_e32 v76, 0x160, v118
	v_mul_u32_u24_e32 v77, 0x160, v119
	;; [unrolled: 1-line block ×7, first 2 shown]
	v_add3_u32 v76, 0, v76, v127
	v_add3_u32 v80, 0, v80, v125
	;; [unrolled: 1-line block ×7, first 2 shown]
	v_fma_f64 v[4:5], v[4:5], 2.0, -v[32:33]
	v_fma_f64 v[6:7], v[6:7], 2.0, -v[34:35]
	v_fma_f64 v[8:9], v[8:9], 2.0, -v[40:41]
	v_fma_f64 v[10:11], v[10:11], 2.0, -v[42:43]
	v_fma_f64 v[16:17], v[16:17], 2.0, -v[44:45]
	v_fma_f64 v[18:19], v[18:19], 2.0, -v[46:47]
	v_fma_f64 v[12:13], v[12:13], 2.0, -v[48:49]
	v_fma_f64 v[14:15], v[14:15], 2.0, -v[50:51]
	v_fma_f64 v[28:29], v[28:29], 2.0, -v[52:53]
	v_fma_f64 v[30:31], v[30:31], 2.0, -v[54:55]
	v_fma_f64 v[24:25], v[24:25], 2.0, -v[56:57]
	v_fma_f64 v[26:27], v[26:27], 2.0, -v[58:59]
	v_fma_f64 v[0:1], v[0:1], 2.0, -v[60:61]
	v_fma_f64 v[2:3], v[2:3], 2.0, -v[62:63]
	ds_store_b128 v80, v[4:7]
	ds_store_b128 v80, v[32:35] offset:176
	ds_store_b128 v82, v[8:11]
	ds_store_b128 v82, v[40:43] offset:176
	;; [unrolled: 2-line block ×7, first 2 shown]
	s_and_saveexec_b32 s1, s0
	s_cbranch_execz .LBB0_25
; %bb.24:
	v_add_nc_u32_e32 v0, 0x302, v64
	s_delay_alu instid0(VALU_DEP_1) | instskip(NEXT) | instid1(VALU_DEP_1)
	v_and_b32_e32 v1, 0xffff, v0
	v_mul_u32_u24_e32 v1, 0xba2f, v1
	s_delay_alu instid0(VALU_DEP_1) | instskip(NEXT) | instid1(VALU_DEP_1)
	v_lshrrev_b32_e32 v8, 19, v1
	v_mul_lo_u16 v1, v8, 11
	v_mul_lo_u16 v8, v8, 22
	s_delay_alu instid0(VALU_DEP_2) | instskip(NEXT) | instid1(VALU_DEP_2)
	v_sub_nc_u16 v0, v0, v1
	v_and_b32_e32 v8, 0xffff, v8
	s_delay_alu instid0(VALU_DEP_2) | instskip(NEXT) | instid1(VALU_DEP_2)
	v_and_b32_e32 v0, 0xffff, v0
	v_lshlrev_b32_e32 v8, 4, v8
	s_delay_alu instid0(VALU_DEP_2)
	v_lshlrev_b32_e32 v9, 4, v0
	global_load_b128 v[0:3], v9, s[4:5]
	v_add3_u32 v8, 0, v9, v8
	s_wait_loadcnt 0x0
	v_mul_f64_e32 v[4:5], v[36:37], v[2:3]
	v_mul_f64_e32 v[2:3], v[38:39], v[2:3]
	s_delay_alu instid0(VALU_DEP_2) | instskip(NEXT) | instid1(VALU_DEP_2)
	v_fma_f64 v[4:5], v[38:39], v[0:1], v[4:5]
	v_fma_f64 v[0:1], v[36:37], v[0:1], -v[2:3]
	s_delay_alu instid0(VALU_DEP_2) | instskip(NEXT) | instid1(VALU_DEP_2)
	v_add_f64_e64 v[2:3], v[22:23], -v[4:5]
	v_add_f64_e64 v[0:1], v[20:21], -v[0:1]
	s_delay_alu instid0(VALU_DEP_2) | instskip(NEXT) | instid1(VALU_DEP_2)
	v_fma_f64 v[6:7], v[22:23], 2.0, -v[2:3]
	v_fma_f64 v[4:5], v[20:21], 2.0, -v[0:1]
	ds_store_b128 v8, v[4:7]
	ds_store_b128 v8, v[0:3] offset:176
.LBB0_25:
	s_wait_alu 0xfffe
	s_or_b32 exec_lo, exec_lo, s1
	v_lshrrev_b16 v0, 1, v64
	v_lshrrev_b16 v1, 1, v70
	v_lshrrev_b32_e32 v50, 20, v75
	v_lshrrev_b32_e32 v51, 20, v74
	;; [unrolled: 1-line block ×3, first 2 shown]
	v_and_b32_e32 v0, 0x7f, v0
	v_mul_lo_u16 v1, 0xbb, v1
	global_wb scope:SCOPE_SE
	s_wait_dscnt 0x0
	s_barrier_signal -1
	v_mul_lo_u16 v3, v54, 22
	v_mul_lo_u16 v0, 0xbb, v0
	v_lshrrev_b16 v46, 11, v1
	v_mul_lo_u16 v1, v50, 22
	s_barrier_wait -1
	global_inv scope:SCOPE_SE
	v_lshrrev_b16 v45, 11, v0
	v_mul_lo_u16 v0, v46, 22
	v_sub_nc_u16 v1, v65, v1
	v_sub_nc_u16 v3, v71, v3
	v_add_nc_u32_e32 v63, 0xffffffbe, v64
	v_mul_lo_u16 v2, v45, 22
	v_sub_nc_u16 v0, v68, v0
	v_and_b32_e32 v47, 0xffff, v1
	v_and_b32_e32 v53, 0xffff, v3
	v_cmp_gt_u32_e64 s0, 0x42, v64
	v_sub_nc_u16 v1, v64, v2
	v_mul_lo_u16 v2, v51, 22
	v_and_b32_e32 v48, 0xff, v0
	v_lshlrev_b32_e32 v0, 5, v47
	s_mov_b32 s2, 0xe8584caa
	v_and_b32_e32 v49, 0xff, v1
	v_sub_nc_u16 v1, v72, v2
	v_lshlrev_b32_e32 v2, 5, v48
	s_clause 0x1
	global_load_b128 v[4:7], v0, s[4:5] offset:192
	global_load_b128 v[8:11], v0, s[4:5] offset:176
	s_mov_b32 s3, 0x3febb67a
	v_lshlrev_b32_e32 v0, 5, v49
	v_and_b32_e32 v52, 0xffff, v1
	v_lshlrev_b32_e32 v1, 5, v53
	s_clause 0x3
	global_load_b128 v[15:18], v2, s[4:5] offset:176
	global_load_b128 v[19:22], v2, s[4:5] offset:192
	;; [unrolled: 1-line block ×4, first 2 shown]
	s_mov_b32 s7, 0xbfebb67a
	s_wait_alu 0xfffe
	s_mov_b32 s6, s2
	v_lshlrev_b32_e32 v0, 5, v52
	v_and_b32_e32 v46, 0xffff, v46
	s_mov_b32 s10, 0x134454ff
	s_mov_b32 s11, 0x3fee6f0e
	s_clause 0x3
	global_load_b128 v[31:34], v0, s[4:5] offset:176
	global_load_b128 v[55:58], v0, s[4:5] offset:192
	;; [unrolled: 1-line block ×4, first 2 shown]
	ds_load_b128 v[35:38], v140 offset:12320
	ds_load_b128 v[75:78], v140 offset:21120
	;; [unrolled: 1-line block ×11, first 2 shown]
	s_mov_b32 s13, 0xbfee6f0e
	s_wait_alu 0xfffe
	s_mov_b32 s12, s10
	s_mov_b32 s14, 0x372fe950
	;; [unrolled: 1-line block ×3, first 2 shown]
	s_wait_loadcnt_dscnt 0x909
	v_mul_f64_e32 v[43:44], v[77:78], v[6:7]
	s_wait_loadcnt 0x8
	v_mul_f64_e32 v[12:13], v[37:38], v[10:11]
	v_mul_f64_e32 v[10:11], v[35:36], v[10:11]
	;; [unrolled: 1-line block ×3, first 2 shown]
	s_wait_loadcnt_dscnt 0x708
	v_mul_f64_e32 v[111:112], v[81:82], v[17:18]
	s_wait_loadcnt_dscnt 0x506
	v_mul_f64_e32 v[115:116], v[89:90], v[25:26]
	;; [unrolled: 2-line block ×3, first 2 shown]
	v_mul_f64_e32 v[119:120], v[87:88], v[25:26]
	v_mul_f64_e32 v[29:30], v[91:92], v[29:30]
	;; [unrolled: 1-line block ×5, first 2 shown]
	s_wait_loadcnt_dscnt 0x304
	v_mul_f64_e32 v[121:122], v[97:98], v[33:34]
	s_wait_loadcnt_dscnt 0x203
	v_mul_f64_e32 v[123:124], v[101:102], v[57:58]
	v_mul_f64_e32 v[33:34], v[95:96], v[33:34]
	;; [unrolled: 1-line block ×3, first 2 shown]
	s_wait_loadcnt_dscnt 0x101
	v_mul_f64_e32 v[125:126], v[105:106], v[61:62]
	s_wait_loadcnt_dscnt 0x0
	v_mul_f64_e32 v[127:128], v[109:110], v[73:74]
	v_mul_f64_e32 v[61:62], v[103:104], v[61:62]
	;; [unrolled: 1-line block ×3, first 2 shown]
	v_fma_f64 v[39:40], v[35:36], v[8:9], -v[12:13]
	v_fma_f64 v[41:42], v[37:38], v[8:9], v[10:11]
	v_fma_f64 v[11:12], v[75:76], v[4:5], -v[43:44]
	v_fma_f64 v[13:14], v[77:78], v[4:5], v[6:7]
	v_mov_b32_e32 v4, 0
	v_fma_f64 v[35:36], v[87:88], v[23:24], -v[115:116]
	v_fma_f64 v[5:6], v[91:92], v[27:28], -v[117:118]
	v_fma_f64 v[37:38], v[89:90], v[23:24], v[119:120]
	v_fma_f64 v[9:10], v[93:94], v[27:28], v[29:30]
	v_fma_f64 v[25:26], v[79:80], v[15:16], -v[111:112]
	v_fma_f64 v[7:8], v[83:84], v[19:20], -v[113:114]
	v_fma_f64 v[43:44], v[81:82], v[15:16], v[17:18]
	v_fma_f64 v[15:16], v[85:86], v[19:20], v[21:22]
	;; [unrolled: 4-line block ×4, first 2 shown]
	ds_load_b128 v[55:58], v140 offset:3520
	ds_load_b128 v[59:62], v140 offset:5280
	ds_load_b128 v[71:74], v140
	ds_load_b128 v[75:78], v140 offset:1760
	v_mul_lo_u16 v117, 0xf9, v70
	v_mul_u32_u24_e32 v118, 0xf83f, v69
	v_mul_u32_u24_e32 v119, 0x420, v50
	global_wb scope:SCOPE_SE
	s_wait_dscnt 0x0
	s_barrier_signal -1
	s_barrier_wait -1
	global_inv scope:SCOPE_SE
	v_add_f64_e32 v[79:80], v[39:40], v[11:12]
	v_add_f64_e32 v[81:82], v[41:42], v[13:14]
	;; [unrolled: 1-line block ×5, first 2 shown]
	v_add_f64_e64 v[99:100], v[41:42], -v[13:14]
	v_add_f64_e32 v[87:88], v[37:38], v[9:10]
	v_add_f64_e32 v[109:110], v[75:76], v[25:26]
	;; [unrolled: 1-line block ×3, first 2 shown]
	v_add_f64_e64 v[115:116], v[37:38], -v[9:10]
	v_add_f64_e32 v[89:90], v[43:44], v[15:16]
	v_add_f64_e32 v[37:38], v[73:74], v[37:38]
	;; [unrolled: 1-line block ×5, first 2 shown]
	v_add_f64_e64 v[111:112], v[43:44], -v[15:16]
	v_add_f64_e32 v[95:96], v[29:30], v[21:22]
	v_add_f64_e32 v[43:44], v[77:78], v[43:44]
	;; [unrolled: 1-line block ×3, first 2 shown]
	v_add_f64_e64 v[101:102], v[39:40], -v[11:12]
	v_add_f64_e32 v[39:40], v[59:60], v[27:28]
	v_add_f64_e32 v[103:104], v[61:62], v[31:32]
	;; [unrolled: 1-line block ×4, first 2 shown]
	v_fma_f64 v[55:56], v[79:80], -0.5, v[55:56]
	v_add_f64_e64 v[79:80], v[35:36], -v[5:6]
	v_fma_f64 v[81:82], v[81:82], -0.5, v[57:58]
	v_cndmask_b32_e64 v35, v63, v64, s0
	v_fma_f64 v[57:58], v[85:86], -0.5, v[71:72]
	v_add_f64_e32 v[5:6], v[113:114], v[5:6]
	v_fma_f64 v[71:72], v[87:88], -0.5, v[73:74]
	v_add_f64_e64 v[73:74], v[25:26], -v[7:8]
	v_fma_f64 v[75:76], v[83:84], -0.5, v[75:76]
	v_add_f64_e64 v[83:84], v[31:32], -v[19:20]
	;; [unrolled: 2-line block ×5, first 2 shown]
	v_fma_f64 v[0:1], v[95:96], -0.5, v[0:1]
	v_add_f64_e32 v[27:28], v[109:110], v[7:8]
	v_fma_f64 v[93:94], v[97:98], -0.5, v[2:3]
	v_add_f64_e32 v[7:8], v[37:38], v[9:10]
	v_mul_u32_u24_e32 v96, 0x420, v54
	v_add_f64_e32 v[29:30], v[43:44], v[15:16]
	v_add_f64_e32 v[13:14], v[41:42], v[13:14]
	;; [unrolled: 1-line block ×7, first 2 shown]
	v_lshrrev_b16 v25, 14, v117
	v_lshlrev_b32_e32 v3, 2, v35
	v_and_b32_e32 v9, 0xffff, v45
	v_lshrrev_b32_e32 v26, 22, v118
	v_mul_u32_u24_e32 v95, 0x420, v51
	v_mul_lo_u16 v2, 0x42, v25
	v_lshlrev_b64_e32 v[50:51], 4, v[3:4]
	v_mul_u32_u24_e32 v10, 0x420, v46
	v_mul_u32_u24_e32 v9, 0x420, v9
	v_lshlrev_b32_e32 v46, 4, v49
	v_fma_f64 v[31:32], v[99:100], s[2:3], v[55:56]
	v_fma_f64 v[36:37], v[99:100], s[6:7], v[55:56]
	;; [unrolled: 1-line block ×20, first 2 shown]
	v_sub_nc_u16 v2, v68, v2
	v_mul_lo_u16 v97, 0x42, v26
	v_add_co_u32 v0, s0, s4, v50
	v_lshlrev_b32_e32 v45, 4, v48
	v_lshlrev_b32_e32 v15, 4, v47
	;; [unrolled: 1-line block ×4, first 2 shown]
	v_and_b32_e32 v2, 0xff, v2
	s_wait_alu 0xf1ff
	v_add_co_ci_u32_e64 v1, s0, s5, v51, s0
	v_add3_u32 v9, 0, v9, v46
	v_sub_nc_u16 v3, v65, v97
	v_add3_u32 v10, 0, v10, v45
	v_add3_u32 v15, 0, v119, v15
	;; [unrolled: 1-line block ×4, first 2 shown]
	s_mov_b32 s2, 0x4755a5e
	s_mov_b32 s3, 0x3fe2cf23
	;; [unrolled: 1-line block ×3, first 2 shown]
	ds_store_b128 v9, v[5:8]
	ds_store_b128 v9, v[54:57] offset:352
	ds_store_b128 v9, v[58:61] offset:704
	ds_store_b128 v10, v[27:30]
	ds_store_b128 v10, v[40:43] offset:352
	ds_store_b128 v10, v[69:72] offset:704
	;; [unrolled: 3-line block ×5, first 2 shown]
	global_wb scope:SCOPE_SE
	s_wait_dscnt 0x0
	s_barrier_signal -1
	s_barrier_wait -1
	global_inv scope:SCOPE_SE
	s_clause 0x1
	global_load_b128 v[5:8], v[0:1], off offset:880
	global_load_b128 v[9:12], v[0:1], off offset:896
	v_lshlrev_b32_e32 v13, 6, v2
	s_clause 0x1
	global_load_b128 v[16:19], v[0:1], off offset:912
	global_load_b128 v[20:23], v[0:1], off offset:928
	v_and_b32_e32 v15, 0xffff, v3
	s_clause 0x1
	global_load_b128 v[27:30], v13, s[4:5] offset:880
	global_load_b128 v[31:34], v13, s[4:5] offset:896
	s_wait_alu 0xfffe
	s_mov_b32 s6, s2
	v_lshlrev_b32_e32 v0, 6, v15
	s_clause 0x5
	global_load_b128 v[36:39], v13, s[4:5] offset:912
	global_load_b128 v[40:43], v13, s[4:5] offset:928
	;; [unrolled: 1-line block ×6, first 2 shown]
	ds_load_b128 v[60:63], v140 offset:5280
	ds_load_b128 v[69:72], v140 offset:10560
	;; [unrolled: 1-line block ×13, first 2 shown]
	v_lshlrev_b32_e32 v3, 2, v64
	v_cmp_lt_u32_e64 s0, 0x41, v64
	v_and_b32_e32 v24, 0xffff, v25
	v_mul_u32_u24_e32 v26, 0x14a0, v26
	v_lshlrev_b32_e32 v2, 4, v2
	v_lshlrev_b32_e32 v15, 4, v15
	s_wait_loadcnt_dscnt 0xb0c
	v_mul_f64_e32 v[0:1], v[62:63], v[7:8]
	s_wait_loadcnt_dscnt 0xa0b
	v_mul_f64_e32 v[13:14], v[71:72], v[11:12]
	;; [unrolled: 2-line block ×3, first 2 shown]
	v_mul_f64_e32 v[11:12], v[69:70], v[11:12]
	v_mul_f64_e32 v[18:19], v[73:74], v[18:19]
	;; [unrolled: 1-line block ×3, first 2 shown]
	s_wait_loadcnt_dscnt 0x809
	v_mul_f64_e32 v[119:120], v[79:80], v[22:23]
	v_mul_f64_e32 v[22:23], v[77:78], v[22:23]
	s_wait_loadcnt_dscnt 0x708
	v_mul_f64_e32 v[121:122], v[83:84], v[29:30]
	v_mul_f64_e32 v[29:30], v[81:82], v[29:30]
	s_wait_loadcnt_dscnt 0x607
	v_mul_f64_e32 v[123:124], v[87:88], v[33:34]
	s_wait_loadcnt_dscnt 0x506
	v_mul_f64_e32 v[125:126], v[91:92], v[38:39]
	v_mul_f64_e32 v[33:34], v[85:86], v[33:34]
	;; [unrolled: 1-line block ×3, first 2 shown]
	s_wait_loadcnt_dscnt 0x405
	v_mul_f64_e32 v[127:128], v[95:96], v[42:43]
	v_mul_f64_e32 v[42:43], v[93:94], v[42:43]
	s_wait_loadcnt_dscnt 0x303
	v_mul_f64_e32 v[129:130], v[103:104], v[46:47]
	v_mul_f64_e32 v[46:47], v[101:102], v[46:47]
	s_wait_loadcnt_dscnt 0x202
	v_mul_f64_e32 v[131:132], v[107:108], v[50:51]
	s_wait_loadcnt_dscnt 0x101
	v_mul_f64_e32 v[133:134], v[111:112], v[54:55]
	v_mul_f64_e32 v[50:51], v[105:106], v[50:51]
	;; [unrolled: 1-line block ×3, first 2 shown]
	s_wait_loadcnt_dscnt 0x0
	v_mul_f64_e32 v[135:136], v[115:116], v[58:59]
	v_mul_f64_e32 v[58:59], v[113:114], v[58:59]
	v_fma_f64 v[60:61], v[60:61], v[5:6], -v[0:1]
	v_fma_f64 v[69:70], v[69:70], v[9:10], -v[13:14]
	;; [unrolled: 1-line block ×3, first 2 shown]
	v_fma_f64 v[71:72], v[71:72], v[9:10], v[11:12]
	v_fma_f64 v[75:76], v[75:76], v[16:17], v[18:19]
	;; [unrolled: 1-line block ×3, first 2 shown]
	v_fma_f64 v[0:1], v[77:78], v[20:21], -v[119:120]
	v_fma_f64 v[5:6], v[79:80], v[20:21], v[22:23]
	v_fma_f64 v[77:78], v[81:82], v[27:28], -v[121:122]
	v_fma_f64 v[27:28], v[83:84], v[27:28], v[29:30]
	v_fma_f64 v[29:30], v[85:86], v[31:32], -v[123:124]
	v_fma_f64 v[79:80], v[89:90], v[36:37], -v[125:126]
	v_fma_f64 v[31:32], v[87:88], v[31:32], v[33:34]
	v_fma_f64 v[33:34], v[91:92], v[36:37], v[38:39]
	v_fma_f64 v[7:8], v[93:94], v[40:41], -v[127:128]
	v_fma_f64 v[9:10], v[95:96], v[40:41], v[42:43]
	v_fma_f64 v[36:37], v[101:102], v[44:45], -v[129:130]
	;; [unrolled: 2-line block ×3, first 2 shown]
	v_fma_f64 v[42:43], v[109:110], v[52:53], -v[133:134]
	v_fma_f64 v[44:45], v[107:108], v[48:49], v[50:51]
	v_fma_f64 v[46:47], v[111:112], v[52:53], v[54:55]
	v_fma_f64 v[11:12], v[113:114], v[56:57], -v[135:136]
	v_fma_f64 v[13:14], v[115:116], v[56:57], v[58:59]
	ds_load_b128 v[16:19], v140
	ds_load_b128 v[20:23], v140 offset:1760
	global_wb scope:SCOPE_SE
	s_wait_dscnt 0x0
	s_barrier_signal -1
	s_barrier_wait -1
	global_inv scope:SCOPE_SE
	v_add_f64_e64 v[83:84], v[60:61], -v[69:70]
	v_add_f64_e32 v[48:49], v[69:70], v[73:74]
	v_add_f64_e64 v[91:92], v[69:70], -v[60:61]
	v_add_f64_e32 v[56:57], v[71:72], v[75:76]
	;; [unrolled: 2-line block ×3, first 2 shown]
	v_add_f64_e32 v[81:82], v[62:63], v[5:6]
	v_add_f64_e32 v[50:51], v[16:17], v[60:61]
	v_add_f64_e32 v[103:104], v[18:19], v[62:63]
	v_add_f64_e64 v[54:55], v[62:63], -v[5:6]
	v_add_f64_e32 v[85:86], v[29:30], v[79:80]
	v_add_f64_e64 v[87:88], v[0:1], -v[73:74]
	v_add_f64_e32 v[93:94], v[31:32], v[33:34]
	v_add_f64_e32 v[89:90], v[77:78], v[7:8]
	;; [unrolled: 1-line block ×3, first 2 shown]
	v_add_f64_e64 v[95:96], v[73:74], -v[0:1]
	v_add_f64_e64 v[60:61], v[60:61], -v[0:1]
	v_add_f64_e32 v[135:136], v[22:23], v[27:28]
	v_add_f64_e32 v[105:106], v[40:41], v[42:43]
	;; [unrolled: 1-line block ×6, first 2 shown]
	v_add_f64_e64 v[109:110], v[69:70], -v[73:74]
	v_add_f64_e64 v[115:116], v[62:63], -v[71:72]
	v_add_f64_e64 v[117:118], v[5:6], -v[75:76]
	v_add_f64_e32 v[121:122], v[20:21], v[77:78]
	v_add_f64_e32 v[143:144], v[99:100], v[38:39]
	v_add_f64_e64 v[123:124], v[27:28], -v[9:10]
	v_add_f64_e64 v[127:128], v[77:78], -v[29:30]
	v_add_f64_e64 v[131:132], v[29:30], -v[77:78]
	v_add_f64_e64 v[77:78], v[77:78], -v[7:8]
	v_add_f64_e64 v[62:63], v[71:72], -v[62:63]
	v_add_f64_e64 v[119:120], v[75:76], -v[5:6]
	v_add_f64_e64 v[125:126], v[31:32], -v[33:34]
	v_add_f64_e64 v[137:138], v[29:30], -v[79:80]
	v_add_f64_e64 v[147:148], v[38:39], -v[13:14]
	v_add_f64_e64 v[151:152], v[36:37], -v[11:12]
	v_add_f64_e64 v[145:146], v[27:28], -v[31:32]
	v_fma_f64 v[48:49], v[48:49], -0.5, v[16:17]
	v_add_f64_e64 v[27:28], v[31:32], -v[27:28]
	v_fma_f64 v[56:57], v[56:57], -0.5, v[18:19]
	v_add_f64_e64 v[149:150], v[36:37], -v[40:41]
	v_fma_f64 v[16:17], v[52:53], -0.5, v[16:17]
	v_fma_f64 v[18:19], v[81:82], -0.5, v[18:19]
	v_add_f64_e64 v[81:82], v[33:34], -v[9:10]
	v_add_f64_e64 v[36:37], v[40:41], -v[36:37]
	v_add_f64_e32 v[50:51], v[50:51], v[69:70]
	v_fma_f64 v[85:86], v[85:86], -0.5, v[20:21]
	v_add_f64_e32 v[71:72], v[103:104], v[71:72]
	v_fma_f64 v[93:94], v[93:94], -0.5, v[22:23]
	v_fma_f64 v[20:21], v[89:90], -0.5, v[20:21]
	;; [unrolled: 1-line block ×3, first 2 shown]
	v_add_f64_e64 v[89:90], v[44:45], -v[46:47]
	v_add_f64_e32 v[69:70], v[83:84], v[87:88]
	v_add_f64_e32 v[83:84], v[91:92], v[95:96]
	v_fma_f64 v[105:106], v[105:106], -0.5, v[97:98]
	v_add_f64_e32 v[31:32], v[135:136], v[31:32]
	v_fma_f64 v[111:112], v[111:112], -0.5, v[99:100]
	v_fma_f64 v[97:98], v[107:108], -0.5, v[97:98]
	v_add_f64_e64 v[107:108], v[40:41], -v[42:43]
	v_fma_f64 v[99:100], v[113:114], -0.5, v[99:100]
	v_add_f64_e64 v[113:114], v[42:43], -v[11:12]
	v_add_f64_e32 v[40:41], v[141:142], v[40:41]
	v_add_f64_e64 v[129:130], v[7:8], -v[79:80]
	v_add_f64_e64 v[133:134], v[79:80], -v[7:8]
	;; [unrolled: 1-line block ×6, first 2 shown]
	v_add_f64_e32 v[87:88], v[115:116], v[117:118]
	v_add_f64_e32 v[29:30], v[121:122], v[29:30]
	;; [unrolled: 1-line block ×4, first 2 shown]
	v_add_f64_e64 v[101:102], v[11:12], -v[42:43]
	v_add_f64_e64 v[155:156], v[13:14], -v[46:47]
	v_fma_f64 v[91:92], v[54:55], s[10:11], v[48:49]
	v_fma_f64 v[48:49], v[54:55], s[12:13], v[48:49]
	;; [unrolled: 1-line block ×8, first 2 shown]
	v_add_f64_e32 v[81:82], v[27:28], v[81:82]
	v_fma_f64 v[117:118], v[123:124], s[10:11], v[85:86]
	v_fma_f64 v[85:86], v[123:124], s[12:13], v[85:86]
	;; [unrolled: 1-line block ×16, first 2 shown]
	v_add_f64_e32 v[113:114], v[36:37], v[113:114]
	v_add_f64_e32 v[27:28], v[50:51], v[73:74]
	;; [unrolled: 1-line block ×13, first 2 shown]
	v_fma_f64 v[40:41], v[58:59], s[2:3], v[91:92]
	s_wait_alu 0xfffe
	v_fma_f64 v[42:43], v[58:59], s[6:7], v[48:49]
	v_fma_f64 v[48:49], v[109:110], s[6:7], v[103:104]
	;; [unrolled: 1-line block ×23, first 2 shown]
	v_add_f64_e32 v[16:17], v[27:28], v[0:1]
	v_add_f64_e32 v[18:19], v[36:37], v[5:6]
	v_lshlrev_b64_e32 v[0:1], 4, v[3:4]
	v_lshlrev_b32_e32 v3, 2, v68
	v_mul_u32_u24_e32 v68, 0x14a0, v24
	v_add_f64_e32 v[5:6], v[29:30], v[7:8]
	v_add_f64_e32 v[7:8], v[31:32], v[9:10]
	;; [unrolled: 1-line block ×4, first 2 shown]
	v_fma_f64 v[20:21], v[69:70], s[14:15], v[40:41]
	v_fma_f64 v[27:28], v[69:70], s[14:15], v[42:43]
	v_fma_f64 v[22:23], v[87:88], s[14:15], v[48:49]
	v_fma_f64 v[29:30], v[87:88], s[14:15], v[50:51]
	v_fma_f64 v[31:32], v[83:84], s[14:15], v[44:45]
	v_fma_f64 v[33:34], v[62:63], s[14:15], v[52:53]
	v_fma_f64 v[36:37], v[83:84], s[14:15], v[46:47]
	v_fma_f64 v[38:39], v[62:63], s[14:15], v[54:55]
	s_wait_alu 0xf1ff
	v_cndmask_b32_e64 v13, 0, 0x14a0, s0
	v_fma_f64 v[40:41], v[127:128], s[14:15], v[56:57]
	v_fma_f64 v[44:45], v[127:128], s[14:15], v[58:59]
	;; [unrolled: 1-line block ×16, first 2 shown]
	v_lshlrev_b32_e32 v14, 4, v35
	v_add_co_u32 v24, s0, s4, v0
	s_wait_alu 0xf1ff
	v_add_co_ci_u32_e64 v25, s0, s5, v1, s0
	s_delay_alu instid0(VALU_DEP_3)
	v_add3_u32 v35, 0, v13, v14
	v_lshlrev_b64_e32 v[13:14], 4, v[3:4]
	v_lshlrev_b32_e32 v3, 2, v65
	v_add3_u32 v0, 0, v68, v2
	v_add3_u32 v1, 0, v26, v15
	ds_store_b128 v35, v[16:19]
	ds_store_b128 v35, v[20:23] offset:1056
	ds_store_b128 v35, v[31:34] offset:2112
	ds_store_b128 v35, v[36:39] offset:3168
	ds_store_b128 v35, v[27:30] offset:4224
	ds_store_b128 v0, v[5:8]
	ds_store_b128 v0, v[40:43] offset:1056
	ds_store_b128 v0, v[48:51] offset:2112
	ds_store_b128 v0, v[52:55] offset:3168
	ds_store_b128 v0, v[44:47] offset:4224
	;; [unrolled: 5-line block ×3, first 2 shown]
	v_lshlrev_b64_e32 v[26:27], 4, v[3:4]
	v_add_co_u32 v29, s0, s4, v13
	s_wait_alu 0xf1ff
	v_add_co_ci_u32_e64 v30, s0, s5, v14, s0
	global_wb scope:SCOPE_SE
	s_wait_dscnt 0x0
	s_barrier_signal -1
	s_barrier_wait -1
	global_inv scope:SCOPE_SE
	s_clause 0x1
	global_load_b128 v[5:8], v[24:25], off offset:5104
	global_load_b128 v[9:12], v[24:25], off offset:5120
	v_add_co_u32 v45, s0, s4, v26
	s_clause 0x3
	global_load_b128 v[0:3], v[24:25], off offset:5136
	global_load_b128 v[13:16], v[24:25], off offset:5152
	global_load_b128 v[17:20], v[29:30], off offset:5120
	global_load_b128 v[21:24], v[29:30], off offset:5104
	s_wait_alu 0xf1ff
	v_add_co_ci_u32_e64 v46, s0, s5, v27, s0
	s_clause 0x5
	global_load_b128 v[25:28], v[29:30], off offset:5136
	global_load_b128 v[29:32], v[29:30], off offset:5152
	;; [unrolled: 1-line block ×6, first 2 shown]
	ds_load_b128 v[49:52], v140 offset:5280
	ds_load_b128 v[53:56], v140 offset:10560
	ds_load_b128 v[57:60], v140 offset:15840
	ds_load_b128 v[68:71], v140 offset:21120
	ds_load_b128 v[72:75], v140 offset:7040
	ds_load_b128 v[76:79], v140 offset:12320
	ds_load_b128 v[80:83], v140 offset:17600
	ds_load_b128 v[84:87], v140 offset:22880
	ds_load_b128 v[88:91], v140 offset:3520
	ds_load_b128 v[92:95], v140 offset:8800
	ds_load_b128 v[96:99], v140 offset:14080
	ds_load_b128 v[100:103], v140 offset:19360
	ds_load_b128 v[104:107], v140 offset:24640
	s_wait_loadcnt_dscnt 0xb0c
	v_mul_f64_e32 v[61:62], v[51:52], v[7:8]
	v_mul_f64_e32 v[7:8], v[49:50], v[7:8]
	s_wait_loadcnt_dscnt 0xa0b
	v_mul_f64_e32 v[108:109], v[55:56], v[11:12]
	v_mul_f64_e32 v[11:12], v[53:54], v[11:12]
	s_wait_loadcnt_dscnt 0x90a
	v_mul_f64_e32 v[110:111], v[59:60], v[2:3]
	v_mul_f64_e32 v[2:3], v[57:58], v[2:3]
	s_wait_loadcnt_dscnt 0x809
	v_mul_f64_e32 v[112:113], v[70:71], v[15:16]
	v_mul_f64_e32 v[15:16], v[68:69], v[15:16]
	s_wait_loadcnt_dscnt 0x608
	v_mul_f64_e32 v[114:115], v[74:75], v[23:24]
	v_mul_f64_e32 v[23:24], v[72:73], v[23:24]
	s_wait_dscnt 0x7
	v_mul_f64_e32 v[116:117], v[78:79], v[19:20]
	v_mul_f64_e32 v[19:20], v[76:77], v[19:20]
	s_wait_loadcnt_dscnt 0x506
	v_mul_f64_e32 v[118:119], v[82:83], v[27:28]
	v_mul_f64_e32 v[27:28], v[80:81], v[27:28]
	s_wait_loadcnt_dscnt 0x405
	;; [unrolled: 3-line block ×6, first 2 shown]
	v_mul_f64_e32 v[128:129], v[106:107], v[47:48]
	v_mul_f64_e32 v[47:48], v[104:105], v[47:48]
	v_fma_f64 v[49:50], v[49:50], v[5:6], -v[61:62]
	v_fma_f64 v[51:52], v[51:52], v[5:6], v[7:8]
	v_fma_f64 v[53:54], v[53:54], v[9:10], -v[108:109]
	v_fma_f64 v[9:10], v[55:56], v[9:10], v[11:12]
	;; [unrolled: 2-line block ×12, first 2 shown]
	ds_load_b128 v[0:3], v140
	ds_load_b128 v[5:8], v140 offset:1760
	global_wb scope:SCOPE_SE
	s_wait_dscnt 0x0
	s_barrier_signal -1
	s_barrier_wait -1
	global_inv scope:SCOPE_SE
	v_add_f64_e64 v[76:77], v[49:50], -v[53:54]
	v_add_f64_e64 v[84:85], v[53:54], -v[49:50]
	v_add_f64_e32 v[47:48], v[53:54], v[11:12]
	v_add_f64_e32 v[70:71], v[9:10], v[55:56]
	;; [unrolled: 1-line block ×12, first 2 shown]
	v_add_f64_e64 v[72:73], v[9:10], -v[55:56]
	v_add_f64_e64 v[80:81], v[57:58], -v[11:12]
	;; [unrolled: 1-line block ×4, first 2 shown]
	v_add_f64_e32 v[98:99], v[35:36], v[39:40]
	v_add_f64_e32 v[100:101], v[37:38], v[41:42]
	;; [unrolled: 1-line block ×4, first 2 shown]
	v_add_f64_e64 v[108:109], v[51:52], -v[9:10]
	v_add_f64_e64 v[110:111], v[13:14], -v[55:56]
	v_add_f64_e32 v[132:133], v[88:89], v[31:32]
	v_add_f64_e32 v[134:135], v[90:91], v[33:34]
	v_add_f64_e64 v[68:69], v[51:52], -v[13:14]
	v_add_f64_e64 v[49:50], v[49:50], -v[57:58]
	;; [unrolled: 1-line block ×14, first 2 shown]
	v_fma_f64 v[47:48], v[47:48], -0.5, v[0:1]
	v_fma_f64 v[70:71], v[70:71], -0.5, v[2:3]
	;; [unrolled: 1-line block ×4, first 2 shown]
	v_add_f64_e32 v[53:54], v[59:60], v[53:54]
	v_add_f64_e32 v[9:10], v[96:97], v[9:10]
	v_add_f64_e64 v[21:22], v[17:18], -v[21:22]
	v_add_f64_e32 v[23:24], v[114:115], v[23:24]
	v_fma_f64 v[78:79], v[78:79], -0.5, v[5:6]
	v_add_f64_e32 v[17:18], v[128:129], v[17:18]
	v_fma_f64 v[5:6], v[82:83], -0.5, v[5:6]
	v_fma_f64 v[86:87], v[86:87], -0.5, v[7:8]
	;; [unrolled: 1-line block ×3, first 2 shown]
	v_add_f64_e64 v[82:83], v[37:38], -v[41:42]
	v_add_f64_e64 v[122:123], v[27:28], -v[19:20]
	;; [unrolled: 1-line block ×3, first 2 shown]
	v_fma_f64 v[98:99], v[98:99], -0.5, v[88:89]
	v_fma_f64 v[100:101], v[100:101], -0.5, v[90:91]
	;; [unrolled: 1-line block ×4, first 2 shown]
	v_add_f64_e64 v[74:75], v[25:26], -v[29:30]
	v_add_f64_e64 v[92:93], v[31:32], -v[35:36]
	;; [unrolled: 1-line block ×6, first 2 shown]
	v_add_f64_e32 v[59:60], v[76:77], v[80:81]
	v_add_f64_e32 v[76:77], v[84:85], v[94:95]
	;; [unrolled: 1-line block ×6, first 2 shown]
	v_add_f64_e64 v[102:103], v[43:44], -v[39:40]
	v_add_f64_e64 v[104:105], v[39:40], -v[43:44]
	;; [unrolled: 1-line block ×4, first 2 shown]
	v_fma_f64 v[84:85], v[68:69], s[10:11], v[47:48]
	v_fma_f64 v[96:97], v[49:50], s[12:13], v[70:71]
	;; [unrolled: 1-line block ×24, first 2 shown]
	v_add_f64_e32 v[11:12], v[53:54], v[11:12]
	v_add_f64_e32 v[9:10], v[9:10], v[55:56]
	;; [unrolled: 1-line block ×14, first 2 shown]
	v_fma_f64 v[25:26], v[72:73], s[2:3], v[84:85]
	v_fma_f64 v[37:38], v[106:107], s[6:7], v[96:97]
	;; [unrolled: 1-line block ×24, first 2 shown]
	v_add_f64_e32 v[0:1], v[11:12], v[57:58]
	v_add_f64_e32 v[2:3], v[9:10], v[13:14]
	;; [unrolled: 1-line block ×6, first 2 shown]
	v_fma_f64 v[13:14], v[59:60], s[14:15], v[25:26]
	v_fma_f64 v[15:16], v[80:81], s[14:15], v[37:38]
	;; [unrolled: 1-line block ×24, first 2 shown]
	ds_store_b128 v140, v[0:3]
	ds_store_b128 v140, v[5:8] offset:1760
	ds_store_b128 v140, v[21:24] offset:10560
	;; [unrolled: 1-line block ×14, first 2 shown]
	global_wb scope:SCOPE_SE
	s_wait_dscnt 0x0
	s_barrier_signal -1
	s_barrier_wait -1
	global_inv scope:SCOPE_SE
	s_and_saveexec_b32 s0, vcc_lo
	s_cbranch_execz .LBB0_27
; %bb.26:
	v_lshl_add_u32 v2, v64, 4, 0
	v_mov_b32_e32 v65, v4
	v_add_nc_u32_e32 v3, 0x6e, v64
	v_add_co_u32 v31, vcc_lo, s8, v66
	ds_load_b128 v[5:8], v2
	ds_load_b128 v[9:12], v2 offset:1760
	v_lshlrev_b64_e32 v[0:1], 4, v[64:65]
	v_lshlrev_b64_e32 v[13:14], 4, v[3:4]
	s_wait_alu 0xfffd
	v_add_co_ci_u32_e32 v32, vcc_lo, s9, v67, vcc_lo
	v_add_nc_u32_e32 v3, 0xdc, v64
	s_delay_alu instid0(VALU_DEP_4) | instskip(SKIP_1) | instid1(VALU_DEP_3)
	v_add_co_u32 v0, vcc_lo, v31, v0
	s_wait_alu 0xfffd
	v_add_co_ci_u32_e32 v1, vcc_lo, v32, v1, vcc_lo
	s_delay_alu instid0(VALU_DEP_3)
	v_lshlrev_b64_e32 v[15:16], 4, v[3:4]
	v_add_co_u32 v13, vcc_lo, v31, v13
	s_wait_alu 0xfffd
	v_add_co_ci_u32_e32 v14, vcc_lo, v32, v14, vcc_lo
	v_add_nc_u32_e32 v3, 0x14a, v64
	s_wait_dscnt 0x1
	global_store_b128 v[0:1], v[5:8], off
	s_wait_dscnt 0x0
	global_store_b128 v[13:14], v[9:12], off
	v_add_co_u32 v0, vcc_lo, v31, v15
	v_lshlrev_b64_e32 v[21:22], 4, v[3:4]
	v_add_nc_u32_e32 v3, 0x1b8, v64
	s_wait_alu 0xfffd
	v_add_co_ci_u32_e32 v1, vcc_lo, v32, v16, vcc_lo
	ds_load_b128 v[5:8], v2 offset:3520
	ds_load_b128 v[9:12], v2 offset:5280
	;; [unrolled: 1-line block ×4, first 2 shown]
	v_lshlrev_b64_e32 v[23:24], 4, v[3:4]
	v_add_nc_u32_e32 v3, 0x226, v64
	v_add_co_u32 v21, vcc_lo, v31, v21
	s_wait_alu 0xfffd
	v_add_co_ci_u32_e32 v22, vcc_lo, v32, v22, vcc_lo
	s_delay_alu instid0(VALU_DEP_3) | instskip(SKIP_4) | instid1(VALU_DEP_4)
	v_lshlrev_b64_e32 v[25:26], 4, v[3:4]
	v_add_nc_u32_e32 v3, 0x294, v64
	v_add_co_u32 v23, vcc_lo, v31, v23
	s_wait_alu 0xfffd
	v_add_co_ci_u32_e32 v24, vcc_lo, v32, v24, vcc_lo
	v_add_co_u32 v25, vcc_lo, v31, v25
	v_lshlrev_b64_e32 v[27:28], 4, v[3:4]
	v_add_nc_u32_e32 v3, 0x302, v64
	s_wait_alu 0xfffd
	v_add_co_ci_u32_e32 v26, vcc_lo, v32, v26, vcc_lo
	s_wait_dscnt 0x3
	global_store_b128 v[0:1], v[5:8], off
	s_wait_dscnt 0x2
	global_store_b128 v[21:22], v[9:12], off
	;; [unrolled: 2-line block ×4, first 2 shown]
	v_lshlrev_b64_e32 v[0:1], 4, v[3:4]
	v_add_nc_u32_e32 v3, 0x370, v64
	ds_load_b128 v[5:8], v2 offset:10560
	ds_load_b128 v[9:12], v2 offset:12320
	;; [unrolled: 1-line block ×4, first 2 shown]
	v_add_co_u32 v21, vcc_lo, v31, v27
	v_lshlrev_b64_e32 v[23:24], 4, v[3:4]
	v_add_nc_u32_e32 v3, 0x3de, v64
	s_wait_alu 0xfffd
	v_add_co_ci_u32_e32 v22, vcc_lo, v32, v28, vcc_lo
	v_add_co_u32 v0, vcc_lo, v31, v0
	s_delay_alu instid0(VALU_DEP_3)
	v_lshlrev_b64_e32 v[25:26], 4, v[3:4]
	v_add_nc_u32_e32 v3, 0x44c, v64
	s_wait_alu 0xfffd
	v_add_co_ci_u32_e32 v1, vcc_lo, v32, v1, vcc_lo
	v_add_co_u32 v23, vcc_lo, v31, v23
	s_wait_alu 0xfffd
	v_add_co_ci_u32_e32 v24, vcc_lo, v32, v24, vcc_lo
	v_lshlrev_b64_e32 v[27:28], 4, v[3:4]
	v_add_nc_u32_e32 v3, 0x4ba, v64
	v_add_co_u32 v25, vcc_lo, v31, v25
	s_wait_alu 0xfffd
	v_add_co_ci_u32_e32 v26, vcc_lo, v32, v26, vcc_lo
	s_wait_dscnt 0x3
	global_store_b128 v[21:22], v[5:8], off
	s_wait_dscnt 0x2
	global_store_b128 v[0:1], v[9:12], off
	s_wait_dscnt 0x1
	global_store_b128 v[23:24], v[13:16], off
	s_wait_dscnt 0x0
	global_store_b128 v[25:26], v[17:20], off
	v_lshlrev_b64_e32 v[0:1], 4, v[3:4]
	v_add_nc_u32_e32 v3, 0x528, v64
	v_add_co_u32 v25, vcc_lo, v31, v27
	ds_load_b128 v[5:8], v2 offset:17600
	ds_load_b128 v[9:12], v2 offset:19360
	ds_load_b128 v[13:16], v2 offset:21120
	ds_load_b128 v[17:20], v2 offset:22880
	ds_load_b128 v[21:24], v2 offset:24640
	s_wait_alu 0xfffd
	v_add_co_ci_u32_e32 v26, vcc_lo, v32, v28, vcc_lo
	v_lshlrev_b64_e32 v[27:28], 4, v[3:4]
	v_add_nc_u32_e32 v3, 0x596, v64
	v_add_co_u32 v0, vcc_lo, v31, v0
	s_wait_alu 0xfffd
	v_add_co_ci_u32_e32 v1, vcc_lo, v32, v1, vcc_lo
	s_delay_alu instid0(VALU_DEP_3) | instskip(SKIP_4) | instid1(VALU_DEP_3)
	v_lshlrev_b64_e32 v[29:30], 4, v[3:4]
	v_add_nc_u32_e32 v3, 0x604, v64
	v_add_co_u32 v27, vcc_lo, v31, v27
	s_wait_alu 0xfffd
	v_add_co_ci_u32_e32 v28, vcc_lo, v32, v28, vcc_lo
	v_lshlrev_b64_e32 v[2:3], 4, v[3:4]
	v_add_co_u32 v29, vcc_lo, v31, v29
	s_wait_alu 0xfffd
	v_add_co_ci_u32_e32 v30, vcc_lo, v32, v30, vcc_lo
	s_delay_alu instid0(VALU_DEP_3)
	v_add_co_u32 v2, vcc_lo, v31, v2
	s_wait_alu 0xfffd
	v_add_co_ci_u32_e32 v3, vcc_lo, v32, v3, vcc_lo
	s_wait_dscnt 0x4
	global_store_b128 v[25:26], v[5:8], off
	s_wait_dscnt 0x3
	global_store_b128 v[0:1], v[9:12], off
	;; [unrolled: 2-line block ×5, first 2 shown]
.LBB0_27:
	s_nop 0
	s_sendmsg sendmsg(MSG_DEALLOC_VGPRS)
	s_endpgm
	.section	.rodata,"a",@progbits
	.p2align	6, 0x0
	.amdhsa_kernel fft_rtc_fwd_len1650_factors_11_2_3_5_5_wgs_110_tpt_110_halfLds_dp_ip_CI_unitstride_sbrr_C2R_dirReg
		.amdhsa_group_segment_fixed_size 0
		.amdhsa_private_segment_fixed_size 0
		.amdhsa_kernarg_size 88
		.amdhsa_user_sgpr_count 2
		.amdhsa_user_sgpr_dispatch_ptr 0
		.amdhsa_user_sgpr_queue_ptr 0
		.amdhsa_user_sgpr_kernarg_segment_ptr 1
		.amdhsa_user_sgpr_dispatch_id 0
		.amdhsa_user_sgpr_private_segment_size 0
		.amdhsa_wavefront_size32 1
		.amdhsa_uses_dynamic_stack 0
		.amdhsa_enable_private_segment 0
		.amdhsa_system_sgpr_workgroup_id_x 1
		.amdhsa_system_sgpr_workgroup_id_y 0
		.amdhsa_system_sgpr_workgroup_id_z 0
		.amdhsa_system_sgpr_workgroup_info 0
		.amdhsa_system_vgpr_workitem_id 0
		.amdhsa_next_free_vgpr 191
		.amdhsa_next_free_sgpr 38
		.amdhsa_reserve_vcc 1
		.amdhsa_float_round_mode_32 0
		.amdhsa_float_round_mode_16_64 0
		.amdhsa_float_denorm_mode_32 3
		.amdhsa_float_denorm_mode_16_64 3
		.amdhsa_fp16_overflow 0
		.amdhsa_workgroup_processor_mode 1
		.amdhsa_memory_ordered 1
		.amdhsa_forward_progress 0
		.amdhsa_round_robin_scheduling 0
		.amdhsa_exception_fp_ieee_invalid_op 0
		.amdhsa_exception_fp_denorm_src 0
		.amdhsa_exception_fp_ieee_div_zero 0
		.amdhsa_exception_fp_ieee_overflow 0
		.amdhsa_exception_fp_ieee_underflow 0
		.amdhsa_exception_fp_ieee_inexact 0
		.amdhsa_exception_int_div_zero 0
	.end_amdhsa_kernel
	.text
.Lfunc_end0:
	.size	fft_rtc_fwd_len1650_factors_11_2_3_5_5_wgs_110_tpt_110_halfLds_dp_ip_CI_unitstride_sbrr_C2R_dirReg, .Lfunc_end0-fft_rtc_fwd_len1650_factors_11_2_3_5_5_wgs_110_tpt_110_halfLds_dp_ip_CI_unitstride_sbrr_C2R_dirReg
                                        ; -- End function
	.section	.AMDGPU.csdata,"",@progbits
; Kernel info:
; codeLenInByte = 15676
; NumSgprs: 40
; NumVgprs: 191
; ScratchSize: 0
; MemoryBound: 0
; FloatMode: 240
; IeeeMode: 1
; LDSByteSize: 0 bytes/workgroup (compile time only)
; SGPRBlocks: 4
; VGPRBlocks: 23
; NumSGPRsForWavesPerEU: 40
; NumVGPRsForWavesPerEU: 191
; Occupancy: 8
; WaveLimiterHint : 1
; COMPUTE_PGM_RSRC2:SCRATCH_EN: 0
; COMPUTE_PGM_RSRC2:USER_SGPR: 2
; COMPUTE_PGM_RSRC2:TRAP_HANDLER: 0
; COMPUTE_PGM_RSRC2:TGID_X_EN: 1
; COMPUTE_PGM_RSRC2:TGID_Y_EN: 0
; COMPUTE_PGM_RSRC2:TGID_Z_EN: 0
; COMPUTE_PGM_RSRC2:TIDIG_COMP_CNT: 0
	.text
	.p2alignl 7, 3214868480
	.fill 96, 4, 3214868480
	.type	__hip_cuid_85dc0c0a5e7bce4a,@object ; @__hip_cuid_85dc0c0a5e7bce4a
	.section	.bss,"aw",@nobits
	.globl	__hip_cuid_85dc0c0a5e7bce4a
__hip_cuid_85dc0c0a5e7bce4a:
	.byte	0                               ; 0x0
	.size	__hip_cuid_85dc0c0a5e7bce4a, 1

	.ident	"AMD clang version 19.0.0git (https://github.com/RadeonOpenCompute/llvm-project roc-6.4.0 25133 c7fe45cf4b819c5991fe208aaa96edf142730f1d)"
	.section	".note.GNU-stack","",@progbits
	.addrsig
	.addrsig_sym __hip_cuid_85dc0c0a5e7bce4a
	.amdgpu_metadata
---
amdhsa.kernels:
  - .args:
      - .actual_access:  read_only
        .address_space:  global
        .offset:         0
        .size:           8
        .value_kind:     global_buffer
      - .offset:         8
        .size:           8
        .value_kind:     by_value
      - .actual_access:  read_only
        .address_space:  global
        .offset:         16
        .size:           8
        .value_kind:     global_buffer
      - .actual_access:  read_only
        .address_space:  global
        .offset:         24
        .size:           8
        .value_kind:     global_buffer
      - .offset:         32
        .size:           8
        .value_kind:     by_value
      - .actual_access:  read_only
        .address_space:  global
        .offset:         40
        .size:           8
        .value_kind:     global_buffer
      - .actual_access:  read_only
        .address_space:  global
        .offset:         48
        .size:           8
        .value_kind:     global_buffer
      - .offset:         56
        .size:           4
        .value_kind:     by_value
      - .actual_access:  read_only
        .address_space:  global
        .offset:         64
        .size:           8
        .value_kind:     global_buffer
      - .actual_access:  read_only
        .address_space:  global
        .offset:         72
        .size:           8
        .value_kind:     global_buffer
      - .address_space:  global
        .offset:         80
        .size:           8
        .value_kind:     global_buffer
    .group_segment_fixed_size: 0
    .kernarg_segment_align: 8
    .kernarg_segment_size: 88
    .language:       OpenCL C
    .language_version:
      - 2
      - 0
    .max_flat_workgroup_size: 110
    .name:           fft_rtc_fwd_len1650_factors_11_2_3_5_5_wgs_110_tpt_110_halfLds_dp_ip_CI_unitstride_sbrr_C2R_dirReg
    .private_segment_fixed_size: 0
    .sgpr_count:     40
    .sgpr_spill_count: 0
    .symbol:         fft_rtc_fwd_len1650_factors_11_2_3_5_5_wgs_110_tpt_110_halfLds_dp_ip_CI_unitstride_sbrr_C2R_dirReg.kd
    .uniform_work_group_size: 1
    .uses_dynamic_stack: false
    .vgpr_count:     191
    .vgpr_spill_count: 0
    .wavefront_size: 32
    .workgroup_processor_mode: 1
amdhsa.target:   amdgcn-amd-amdhsa--gfx1201
amdhsa.version:
  - 1
  - 2
...

	.end_amdgpu_metadata
